;; amdgpu-corpus repo=ROCm/rocFFT kind=compiled arch=gfx906 opt=O3
	.text
	.amdgcn_target "amdgcn-amd-amdhsa--gfx906"
	.amdhsa_code_object_version 6
	.protected	bluestein_single_fwd_len1512_dim1_dp_op_CI_CI ; -- Begin function bluestein_single_fwd_len1512_dim1_dp_op_CI_CI
	.globl	bluestein_single_fwd_len1512_dim1_dp_op_CI_CI
	.p2align	8
	.type	bluestein_single_fwd_len1512_dim1_dp_op_CI_CI,@function
bluestein_single_fwd_len1512_dim1_dp_op_CI_CI: ; @bluestein_single_fwd_len1512_dim1_dp_op_CI_CI
; %bb.0:
	s_load_dwordx4 s[16:19], s[4:5], 0x28
	s_mov_b64 s[38:39], s[2:3]
	v_mul_u32_u24_e32 v1, 0x411, v0
	s_mov_b64 s[36:37], s[0:1]
	v_add_u32_sdwa v4, s6, v1 dst_sel:DWORD dst_unused:UNUSED_PAD src0_sel:DWORD src1_sel:WORD_1
	v_mov_b32_e32 v5, 0
	s_add_u32 s36, s36, s7
	s_waitcnt lgkmcnt(0)
	v_cmp_gt_u64_e32 vcc, s[16:17], v[4:5]
	s_addc_u32 s37, s37, 0
	s_and_saveexec_b64 s[0:1], vcc
	s_cbranch_execz .LBB0_10
; %bb.1:
	s_load_dwordx4 s[0:3], s[4:5], 0x18
	s_load_dwordx4 s[12:15], s[4:5], 0x0
	v_mov_b32_e32 v2, 63
	v_mul_lo_u16_sdwa v1, v1, v2 dst_sel:DWORD dst_unused:UNUSED_PAD src0_sel:WORD_1 src1_sel:DWORD
	v_sub_u16_e32 v97, v0, v1
	s_waitcnt lgkmcnt(0)
	s_load_dwordx4 s[8:11], s[0:1], 0x0
	v_mov_b32_e32 v5, v4
	buffer_store_dword v5, off, s[36:39], 0 offset:16 ; 4-byte Folded Spill
	s_nop 0
	buffer_store_dword v6, off, s[36:39], 0 offset:20 ; 4-byte Folded Spill
	v_lshlrev_b32_e32 v96, 4, v97
	s_movk_i32 s6, 0x2000
	s_waitcnt lgkmcnt(0)
	v_mad_u64_u32 v[0:1], s[0:1], s10, v4, 0
	v_mad_u64_u32 v[2:3], s[0:1], s8, v97, 0
	s_mul_hi_u32 s7, s8, 0xffffd4b0
	s_sub_i32 s7, s7, s8
	v_mad_u64_u32 v[4:5], s[0:1], s11, v4, v[1:2]
	v_mad_u64_u32 v[5:6], s[0:1], s9, v97, v[3:4]
	v_mov_b32_e32 v1, v4
	v_lshlrev_b64 v[0:1], 4, v[0:1]
	v_mov_b32_e32 v6, s19
	v_mov_b32_e32 v3, v5
	v_add_co_u32_e32 v4, vcc, s18, v0
	v_addc_co_u32_e32 v5, vcc, v6, v1, vcc
	v_lshlrev_b64 v[0:1], 4, v[2:3]
	s_mul_i32 s0, s9, 0x2f40
	v_add_co_u32_e32 v8, vcc, v4, v0
	v_addc_co_u32_e32 v9, vcc, v5, v1, vcc
	v_mov_b32_e32 v0, s13
	v_add_co_u32_e32 v36, vcc, s12, v96
	s_mul_hi_u32 s1, s8, 0x2f40
	v_addc_co_u32_e32 v37, vcc, 0, v0, vcc
	s_add_i32 s0, s1, s0
	s_mul_i32 s1, s8, 0x2f40
	v_mov_b32_e32 v0, s0
	v_add_co_u32_e32 v10, vcc, s1, v8
	v_addc_co_u32_e32 v11, vcc, v9, v0, vcc
	v_add_co_u32_e32 v32, vcc, s6, v36
	v_addc_co_u32_e32 v33, vcc, 0, v37, vcc
	global_load_dwordx4 v[0:3], v[8:9], off
	global_load_dwordx4 v[4:7], v[10:11], off
	global_load_dwordx4 v[52:55], v[32:33], off offset:3904
	global_load_dwordx4 v[80:83], v96, s[12:13]
	global_load_dwordx4 v[72:75], v96, s[12:13] offset:1008
	s_mul_i32 s6, s9, 0xffffd4b0
	s_add_i32 s6, s7, s6
	s_mul_i32 s7, s8, 0xffffd4b0
	v_mov_b32_e32 v8, s6
	v_add_co_u32_e32 v16, vcc, s7, v10
	v_addc_co_u32_e32 v17, vcc, v11, v8, vcc
	v_mov_b32_e32 v8, s0
	v_add_co_u32_e32 v18, vcc, s1, v16
	v_addc_co_u32_e32 v19, vcc, v17, v8, vcc
	s_movk_i32 s8, 0x3000
	v_add_co_u32_e32 v34, vcc, s8, v36
	v_addc_co_u32_e32 v35, vcc, 0, v37, vcc
	global_load_dwordx4 v[8:11], v[16:17], off
	global_load_dwordx4 v[12:15], v[18:19], off
	v_mov_b32_e32 v17, s6
	v_add_co_u32_e32 v16, vcc, s7, v18
	v_addc_co_u32_e32 v17, vcc, v19, v17, vcc
	global_load_dwordx4 v[76:79], v[34:35], off offset:816
	global_load_dwordx4 v[20:23], v[16:17], off
	global_load_dwordx4 v[60:63], v96, s[12:13] offset:2016
	v_mov_b32_e32 v18, s0
	v_add_co_u32_e32 v16, vcc, s1, v16
	v_addc_co_u32_e32 v17, vcc, v17, v18, vcc
	global_load_dwordx4 v[24:27], v[16:17], off
	global_load_dwordx4 v[56:59], v[34:35], off offset:1824
	v_mov_b32_e32 v18, s6
	v_add_co_u32_e32 v16, vcc, s7, v16
	v_addc_co_u32_e32 v17, vcc, v17, v18, vcc
	global_load_dwordx4 v[28:31], v[16:17], off
	global_load_dwordx4 v[68:71], v96, s[12:13] offset:3024
	v_mov_b32_e32 v18, s0
	v_add_co_u32_e32 v16, vcc, s1, v16
	v_addc_co_u32_e32 v17, vcc, v17, v18, vcc
	v_mov_b32_e32 v18, s6
	v_add_co_u32_e32 v42, vcc, s7, v16
	v_addc_co_u32_e32 v43, vcc, v17, v18, vcc
	global_load_dwordx4 v[38:41], v[16:17], off
	global_load_dwordx4 v[64:67], v[34:35], off offset:2832
	s_nop 0
	global_load_dwordx4 v[16:19], v[42:43], off
	global_load_dwordx4 v[88:91], v96, s[12:13] offset:4032
	global_load_dwordx4 v[84:87], v[32:33], off offset:2896
	s_waitcnt vmcnt(15)
	v_mul_f64 v[44:45], v[2:3], v[82:83]
	v_mul_f64 v[48:49], v[6:7], v[54:55]
	;; [unrolled: 1-line block ×4, first 2 shown]
	v_fma_f64 v[0:1], v[0:1], v[80:81], v[44:45]
	buffer_store_dword v80, off, s[36:39], 0 offset:152 ; 4-byte Folded Spill
	s_nop 0
	buffer_store_dword v81, off, s[36:39], 0 offset:156 ; 4-byte Folded Spill
	buffer_store_dword v82, off, s[36:39], 0 offset:160 ; 4-byte Folded Spill
	;; [unrolled: 1-line block ×3, first 2 shown]
	v_fma_f64 v[4:5], v[4:5], v[52:53], v[48:49]
	buffer_store_dword v52, off, s[36:39], 0 offset:40 ; 4-byte Folded Spill
	s_nop 0
	buffer_store_dword v53, off, s[36:39], 0 offset:44 ; 4-byte Folded Spill
	buffer_store_dword v54, off, s[36:39], 0 offset:48 ; 4-byte Folded Spill
	;; [unrolled: 1-line block ×3, first 2 shown]
	s_load_dwordx4 s[8:11], s[2:3], 0x0
	s_waitcnt vmcnt(21)
	v_mul_f64 v[44:45], v[10:11], v[74:75]
	s_waitcnt vmcnt(19)
	v_mul_f64 v[48:49], v[14:15], v[78:79]
	v_fma_f64 v[2:3], v[2:3], v[80:81], -v[46:47]
	v_mul_f64 v[46:47], v[8:9], v[74:75]
	v_fma_f64 v[6:7], v[6:7], v[52:53], -v[50:51]
	ds_write_b128 v96, v[0:3]
	ds_write_b128 v96, v[4:7] offset:12096
	v_fma_f64 v[2:3], v[8:9], v[72:73], v[44:45]
	buffer_store_dword v72, off, s[36:39], 0 offset:120 ; 4-byte Folded Spill
	s_nop 0
	buffer_store_dword v73, off, s[36:39], 0 offset:124 ; 4-byte Folded Spill
	buffer_store_dword v74, off, s[36:39], 0 offset:128 ; 4-byte Folded Spill
	;; [unrolled: 1-line block ×3, first 2 shown]
	v_mul_f64 v[50:51], v[12:13], v[78:79]
	v_fma_f64 v[6:7], v[12:13], v[76:77], v[48:49]
	buffer_store_dword v76, off, s[36:39], 0 offset:136 ; 4-byte Folded Spill
	s_nop 0
	buffer_store_dword v77, off, s[36:39], 0 offset:140 ; 4-byte Folded Spill
	buffer_store_dword v78, off, s[36:39], 0 offset:144 ; 4-byte Folded Spill
	;; [unrolled: 1-line block ×3, first 2 shown]
	s_waitcnt vmcnt(25)
	v_mul_f64 v[12:13], v[20:21], v[62:63]
	s_waitcnt vmcnt(23)
	v_mul_f64 v[44:45], v[24:25], v[58:59]
	v_add_co_u32_e32 v0, vcc, 63, v97
	v_addc_co_u32_e64 v1, s[2:3], 0, 0, vcc
	s_movk_i32 s2, 0x7e
	s_movk_i32 s3, 0x1000
	v_fma_f64 v[4:5], v[10:11], v[72:73], -v[46:47]
	v_mul_f64 v[10:11], v[22:23], v[62:63]
	v_fma_f64 v[8:9], v[14:15], v[76:77], -v[50:51]
	v_mul_f64 v[14:15], v[26:27], v[58:59]
	ds_write_b128 v96, v[2:5] offset:1008
	ds_write_b128 v96, v[6:9] offset:13104
	v_fma_f64 v[5:6], v[20:21], v[60:61], v[10:11]
	buffer_store_dword v60, off, s[36:39], 0 offset:72 ; 4-byte Folded Spill
	s_nop 0
	buffer_store_dword v61, off, s[36:39], 0 offset:76 ; 4-byte Folded Spill
	buffer_store_dword v62, off, s[36:39], 0 offset:80 ; 4-byte Folded Spill
	buffer_store_dword v63, off, s[36:39], 0 offset:84 ; 4-byte Folded Spill
	v_fma_f64 v[9:10], v[24:25], v[56:57], v[14:15]
	buffer_store_dword v56, off, s[36:39], 0 offset:56 ; 4-byte Folded Spill
	s_nop 0
	buffer_store_dword v57, off, s[36:39], 0 offset:60 ; 4-byte Folded Spill
	buffer_store_dword v58, off, s[36:39], 0 offset:64 ; 4-byte Folded Spill
	;; [unrolled: 1-line block ×3, first 2 shown]
	s_waitcnt vmcnt(29)
	v_mul_f64 v[2:3], v[30:31], v[70:71]
	s_waitcnt vmcnt(27)
	v_mul_f64 v[20:21], v[40:41], v[66:67]
	global_load_dwordx4 v[139:142], v[34:35], off offset:3840
	v_add_co_u32_e32 v4, vcc, s2, v97
	v_mov_b32_e32 v15, s0
	v_add_co_u32_e32 v24, vcc, s1, v42
	v_addc_co_u32_e32 v25, vcc, v43, v15, vcc
	v_mov_b32_e32 v15, s6
	s_movk_i32 s2, 0xbd
	v_and_b32_e32 v180, 3, v4
	v_fma_f64 v[7:8], v[22:23], v[60:61], -v[12:13]
	v_mul_f64 v[13:14], v[28:29], v[70:71]
	v_fma_f64 v[11:12], v[26:27], v[56:57], -v[44:45]
	v_mul_f64 v[22:23], v[38:39], v[66:67]
	ds_write_b128 v96, v[5:8] offset:2016
	ds_write_b128 v96, v[9:12] offset:14112
	v_fma_f64 v[5:6], v[28:29], v[68:69], v[2:3]
	buffer_store_dword v68, off, s[36:39], 0 offset:104 ; 4-byte Folded Spill
	s_nop 0
	buffer_store_dword v69, off, s[36:39], 0 offset:108 ; 4-byte Folded Spill
	buffer_store_dword v70, off, s[36:39], 0 offset:112 ; 4-byte Folded Spill
	;; [unrolled: 1-line block ×3, first 2 shown]
	v_fma_f64 v[9:10], v[38:39], v[64:65], v[20:21]
	buffer_store_dword v64, off, s[36:39], 0 offset:88 ; 4-byte Folded Spill
	s_nop 0
	buffer_store_dword v65, off, s[36:39], 0 offset:92 ; 4-byte Folded Spill
	buffer_store_dword v66, off, s[36:39], 0 offset:96 ; 4-byte Folded Spill
	;; [unrolled: 1-line block ×3, first 2 shown]
	v_add_co_u32_e32 v28, vcc, s7, v24
	v_addc_co_u32_e32 v29, vcc, v25, v15, vcc
	v_add_co_u32_e32 v34, vcc, s3, v36
	v_addc_co_u32_e32 v35, vcc, 0, v37, vcc
	v_mov_b32_e32 v15, s0
	v_add_co_u32_e32 v38, vcc, s1, v28
	v_addc_co_u32_e32 v39, vcc, v29, v15, vcc
	s_movk_i32 s3, 0x4000
	v_add_co_u32_e32 v62, vcc, s3, v36
	v_addc_co_u32_e32 v63, vcc, 0, v37, vcc
	v_mov_b32_e32 v15, s6
	v_add_co_u32_e32 v42, vcc, s7, v38
	v_addc_co_u32_e32 v43, vcc, v39, v15, vcc
	v_mov_b32_e32 v15, s0
	;; [unrolled: 3-line block ×6, first 2 shown]
	s_movk_i32 s3, 0x5000
	s_waitcnt vmcnt(34)
	v_mul_f64 v[2:3], v[18:19], v[90:91]
	v_fma_f64 v[7:8], v[30:31], v[68:69], -v[13:14]
	v_mul_f64 v[13:14], v[16:17], v[90:91]
	v_fma_f64 v[11:12], v[40:41], v[64:65], -v[22:23]
	global_load_dwordx4 v[20:23], v[24:25], off
	s_nop 0
	global_load_dwordx4 v[24:27], v[28:29], off
	s_nop 0
	;; [unrolled: 2-line block ×3, first 2 shown]
	global_load_dwordx4 v[38:41], v[42:43], off
	global_load_dwordx4 v[147:150], v[34:35], off offset:944
	global_load_dwordx4 v[135:138], v[34:35], off offset:1952
	s_nop 0
	global_load_dwordx4 v[42:45], v[46:47], off
	global_load_dwordx4 v[143:146], v[62:63], off offset:752
	global_load_dwordx4 v[127:130], v[62:63], off offset:1760
	s_nop 0
	global_load_dwordx4 v[46:49], v[50:51], off
	s_nop 0
	global_load_dwordx4 v[50:53], v[54:55], off
	;; [unrolled: 2-line block ×3, first 2 shown]
	global_load_dwordx4 v[131:134], v[34:35], off offset:2960
	global_load_dwordx4 v[119:122], v[34:35], off offset:3968
	v_add_co_u32_e32 v34, vcc, s1, v58
	v_addc_co_u32_e32 v35, vcc, v59, v15, vcc
	global_load_dwordx4 v[58:61], v[34:35], off
	global_load_dwordx4 v[123:126], v[62:63], off offset:2768
	global_load_dwordx4 v[111:114], v[62:63], off offset:3776
	v_mov_b32_e32 v15, s6
	v_add_co_u32_e32 v34, vcc, s7, v34
	v_addc_co_u32_e32 v35, vcc, v35, v15, vcc
	global_load_dwordx4 v[62:65], v[34:35], off
	v_mov_b32_e32 v15, s0
	v_add_co_u32_e32 v34, vcc, s1, v34
	v_addc_co_u32_e32 v35, vcc, v35, v15, vcc
	v_add_co_u32_e32 v82, vcc, s3, v36
	v_addc_co_u32_e32 v83, vcc, 0, v37, vcc
	v_mov_b32_e32 v15, s6
	v_add_co_u32_e32 v70, vcc, s7, v34
	v_addc_co_u32_e32 v71, vcc, v35, v15, vcc
	global_load_dwordx4 v[66:69], v[34:35], off
	global_load_dwordx4 v[107:110], v[82:83], off offset:688
	s_nop 0
	global_load_dwordx4 v[34:37], v[70:71], off
	global_load_dwordx4 v[115:118], v[32:33], off offset:880
	global_load_dwordx4 v[103:106], v[32:33], off offset:1888
	v_mov_b32_e32 v15, s0
	v_add_co_u32_e32 v32, vcc, s1, v70
	v_addc_co_u32_e32 v33, vcc, v71, v15, vcc
	global_load_dwordx4 v[70:73], v[32:33], off
	global_load_dwordx4 v[92:95], v[82:83], off offset:1696
	v_mov_b32_e32 v15, s6
	v_add_co_u32_e32 v32, vcc, s7, v32
	v_addc_co_u32_e32 v33, vcc, v33, v15, vcc
	global_load_dwordx4 v[74:77], v[32:33], off
	v_mov_b32_e32 v15, s0
	v_add_co_u32_e32 v32, vcc, s1, v32
	v_addc_co_u32_e32 v33, vcc, v33, v15, vcc
	global_load_dwordx4 v[78:81], v[32:33], off
	global_load_dwordx4 v[99:102], v[82:83], off offset:2704
	ds_write_b128 v96, v[5:8] offset:3024
	ds_write_b128 v96, v[9:12] offset:15120
	v_fma_f64 v[7:8], v[16:17], v[88:89], v[2:3]
	buffer_store_dword v88, off, s[36:39], 0 offset:24 ; 4-byte Folded Spill
	s_nop 0
	buffer_store_dword v89, off, s[36:39], 0 offset:28 ; 4-byte Folded Spill
	buffer_store_dword v90, off, s[36:39], 0 offset:32 ; 4-byte Folded Spill
	;; [unrolled: 1-line block ×3, first 2 shown]
	v_add_co_u32_e32 v98, vcc, s2, v97
	s_movk_i32 s0, 0xfc
	v_add_co_u32_e32 v6, vcc, s0, v97
	s_movk_i32 s1, 0x13b
	;; [unrolled: 2-line block ×3, first 2 shown]
	v_and_b32_e32 v181, 3, v98
	v_and_b32_e32 v182, 3, v5
	s_mov_b32 s3, 0xbfebb67a
	s_movk_i32 s6, 0xab
	s_waitcnt vmcnt(31)
	v_mul_f64 v[32:33], v[22:23], v[141:142]
	v_mul_f64 v[82:83], v[20:21], v[141:142]
	s_waitcnt vmcnt(27)
	v_mul_f64 v[2:3], v[26:27], v[149:150]
	v_mul_f64 v[15:16], v[24:25], v[149:150]
	v_fma_f64 v[11:12], v[20:21], v[139:140], v[32:33]
	buffer_store_dword v139, off, s[36:39], 0 offset:344 ; 4-byte Folded Spill
	s_nop 0
	buffer_store_dword v140, off, s[36:39], 0 offset:348 ; 4-byte Folded Spill
	buffer_store_dword v141, off, s[36:39], 0 offset:352 ; 4-byte Folded Spill
	;; [unrolled: 1-line block ×3, first 2 shown]
	v_and_b32_e32 v142, 3, v0
	v_fma_f64 v[9:10], v[18:19], v[88:89], -v[13:14]
	s_waitcnt vmcnt(28)
	v_mul_f64 v[17:18], v[30:31], v[145:146]
	s_waitcnt vmcnt(27)
	v_mul_f64 v[19:20], v[42:43], v[129:130]
	v_fma_f64 v[13:14], v[22:23], v[139:140], -v[82:83]
	ds_write_b128 v96, v[7:10] offset:4032
	ds_write_b128 v96, v[11:14] offset:16128
	v_fma_f64 v[7:8], v[24:25], v[147:148], v[2:3]
	buffer_store_dword v147, off, s[36:39], 0 offset:376 ; 4-byte Folded Spill
	s_nop 0
	buffer_store_dword v148, off, s[36:39], 0 offset:380 ; 4-byte Folded Spill
	buffer_store_dword v149, off, s[36:39], 0 offset:384 ; 4-byte Folded Spill
	buffer_store_dword v150, off, s[36:39], 0 offset:388 ; 4-byte Folded Spill
	v_mul_f64 v[2:3], v[40:41], v[137:138]
	v_mul_f64 v[13:14], v[28:29], v[145:146]
	v_fma_f64 v[11:12], v[28:29], v[143:144], v[17:18]
	buffer_store_dword v143, off, s[36:39], 0 offset:360 ; 4-byte Folded Spill
	s_nop 0
	buffer_store_dword v144, off, s[36:39], 0 offset:364 ; 4-byte Folded Spill
	buffer_store_dword v145, off, s[36:39], 0 offset:368 ; 4-byte Folded Spill
	;; [unrolled: 1-line block ×3, first 2 shown]
	v_mul_f64 v[17:18], v[44:45], v[129:130]
	s_waitcnt vmcnt(27)
	v_mul_f64 v[21:22], v[58:59], v[113:114]
	s_waitcnt vmcnt(22)
	v_mul_f64 v[23:24], v[62:63], v[117:118]
	v_fma_f64 v[9:10], v[26:27], v[147:148], -v[15:16]
	v_mul_f64 v[15:16], v[38:39], v[137:138]
	v_mul_f64 v[25:26], v[68:69], v[109:110]
	v_mul_f64 v[27:28], v[66:67], v[109:110]
	v_fma_f64 v[13:14], v[30:31], v[143:144], -v[13:14]
	s_waitcnt vmcnt(16)
	v_mul_f64 v[29:30], v[80:81], v[101:102]
	v_mul_f64 v[31:32], v[78:79], v[101:102]
	ds_write_b128 v96, v[7:10] offset:5040
	v_fma_f64 v[7:8], v[38:39], v[135:136], v[2:3]
	buffer_store_dword v135, off, s[36:39], 0 offset:328 ; 4-byte Folded Spill
	s_nop 0
	buffer_store_dword v136, off, s[36:39], 0 offset:332 ; 4-byte Folded Spill
	buffer_store_dword v137, off, s[36:39], 0 offset:336 ; 4-byte Folded Spill
	buffer_store_dword v138, off, s[36:39], 0 offset:340 ; 4-byte Folded Spill
	v_add_co_u32_e32 v3, vcc, s1, v97
	v_fma_f64 v[29:30], v[78:79], v[99:100], v[29:30]
	s_movk_i32 s1, 0x1b9
	v_add_co_u32_e32 v2, vcc, s1, v97
	v_and_b32_e32 v137, 1, v0
	v_and_b32_e32 v138, 1, v5
	;; [unrolled: 1-line block ×3, first 2 shown]
	s_movk_i32 s1, 0x7c
	v_and_b32_e32 v183, 3, v3
	v_and_b32_e32 v184, 3, v2
	v_fma_f64 v[9:10], v[40:41], v[135:136], -v[15:16]
	v_fma_f64 v[15:16], v[42:43], v[127:128], v[17:18]
	buffer_store_dword v127, off, s[36:39], 0 offset:296 ; 4-byte Folded Spill
	s_nop 0
	buffer_store_dword v128, off, s[36:39], 0 offset:300 ; 4-byte Folded Spill
	buffer_store_dword v129, off, s[36:39], 0 offset:304 ; 4-byte Folded Spill
	;; [unrolled: 1-line block ×3, first 2 shown]
	ds_write_b128 v96, v[11:14] offset:17136
	v_mul_f64 v[11:12], v[48:49], v[133:134]
	v_mul_f64 v[13:14], v[46:47], v[133:134]
	v_and_b32_e32 v136, 1, v98
	v_fma_f64 v[17:18], v[44:45], v[127:128], -v[19:20]
	ds_write_b128 v96, v[7:10] offset:6048
	ds_write_b128 v96, v[15:18] offset:18144
	v_fma_f64 v[7:8], v[46:47], v[131:132], v[11:12]
	buffer_store_dword v131, off, s[36:39], 0 offset:312 ; 4-byte Folded Spill
	s_nop 0
	buffer_store_dword v132, off, s[36:39], 0 offset:316 ; 4-byte Folded Spill
	buffer_store_dword v133, off, s[36:39], 0 offset:320 ; 4-byte Folded Spill
	;; [unrolled: 1-line block ×3, first 2 shown]
	v_mul_f64 v[11:12], v[52:53], v[125:126]
	v_mul_f64 v[15:16], v[56:57], v[121:122]
	;; [unrolled: 1-line block ×4, first 2 shown]
	v_fma_f64 v[11:12], v[50:51], v[123:124], v[11:12]
	v_fma_f64 v[15:16], v[54:55], v[119:120], v[15:16]
	;; [unrolled: 1-line block ×3, first 2 shown]
	v_fma_f64 v[9:10], v[48:49], v[131:132], -v[13:14]
	v_mul_f64 v[13:14], v[50:51], v[125:126]
	buffer_store_dword v123, off, s[36:39], 0 offset:280 ; 4-byte Folded Spill
	s_nop 0
	buffer_store_dword v124, off, s[36:39], 0 offset:284 ; 4-byte Folded Spill
	buffer_store_dword v125, off, s[36:39], 0 offset:288 ; 4-byte Folded Spill
	buffer_store_dword v126, off, s[36:39], 0 offset:292 ; 4-byte Folded Spill
	buffer_store_dword v119, off, s[36:39], 0 offset:264 ; 4-byte Folded Spill
	s_nop 0
	buffer_store_dword v120, off, s[36:39], 0 offset:268 ; 4-byte Folded Spill
	buffer_store_dword v121, off, s[36:39], 0 offset:272 ; 4-byte Folded Spill
	buffer_store_dword v122, off, s[36:39], 0 offset:276 ; 4-byte Folded Spill
	;; [unrolled: 5-line block ×3, first 2 shown]
	ds_write_b128 v96, v[7:10] offset:7056
	v_mul_f64 v[9:10], v[64:65], v[117:118]
	v_add_u32_e32 v8, 0x237, v97
	v_add_u32_e32 v7, 0x2b5, v97
	v_and_b32_e32 v140, 1, v8
	v_and_b32_e32 v141, 3, v8
	;; [unrolled: 1-line block ×3, first 2 shown]
	v_fma_f64 v[9:10], v[62:63], v[115:116], v[9:10]
	v_fma_f64 v[13:14], v[52:53], v[123:124], -v[13:14]
	v_fma_f64 v[17:18], v[56:57], v[119:120], -v[17:18]
	;; [unrolled: 1-line block ×3, first 2 shown]
	ds_write_b128 v96, v[11:14] offset:19152
	ds_write_b128 v96, v[15:18] offset:8064
	;; [unrolled: 1-line block ×3, first 2 shown]
	buffer_store_dword v115, off, s[36:39], 0 offset:248 ; 4-byte Folded Spill
	s_nop 0
	buffer_store_dword v116, off, s[36:39], 0 offset:252 ; 4-byte Folded Spill
	buffer_store_dword v117, off, s[36:39], 0 offset:256 ; 4-byte Folded Spill
	;; [unrolled: 1-line block ×3, first 2 shown]
	v_fma_f64 v[13:14], v[66:67], v[107:108], v[25:26]
	buffer_store_dword v107, off, s[36:39], 0 offset:216 ; 4-byte Folded Spill
	s_nop 0
	buffer_store_dword v108, off, s[36:39], 0 offset:220 ; 4-byte Folded Spill
	buffer_store_dword v109, off, s[36:39], 0 offset:224 ; 4-byte Folded Spill
	;; [unrolled: 1-line block ×3, first 2 shown]
	v_mul_f64 v[17:18], v[36:37], v[105:106]
	v_mul_f64 v[21:22], v[72:73], v[94:95]
	;; [unrolled: 1-line block ×4, first 2 shown]
	v_fma_f64 v[17:18], v[34:35], v[103:104], v[17:18]
	buffer_store_dword v103, off, s[36:39], 0 offset:200 ; 4-byte Folded Spill
	s_nop 0
	buffer_store_dword v104, off, s[36:39], 0 offset:204 ; 4-byte Folded Spill
	buffer_store_dword v105, off, s[36:39], 0 offset:208 ; 4-byte Folded Spill
	;; [unrolled: 1-line block ×3, first 2 shown]
	v_fma_f64 v[21:22], v[70:71], v[92:93], v[21:22]
	v_fma_f64 v[25:26], v[74:75], v[84:85], v[25:26]
	v_fma_f64 v[11:12], v[64:65], v[115:116], -v[23:24]
	v_mul_f64 v[23:24], v[70:71], v[94:95]
	v_fma_f64 v[15:16], v[68:69], v[107:108], -v[27:28]
	v_mul_f64 v[27:28], v[74:75], v[86:87]
	buffer_store_dword v92, off, s[36:39], 0 offset:168 ; 4-byte Folded Spill
	s_nop 0
	buffer_store_dword v93, off, s[36:39], 0 offset:172 ; 4-byte Folded Spill
	buffer_store_dword v94, off, s[36:39], 0 offset:176 ; 4-byte Folded Spill
	;; [unrolled: 1-line block ×3, first 2 shown]
	buffer_store_dword v84, off, s[36:39], 0 ; 4-byte Folded Spill
	s_nop 0
	buffer_store_dword v85, off, s[36:39], 0 offset:4 ; 4-byte Folded Spill
	buffer_store_dword v86, off, s[36:39], 0 offset:8 ; 4-byte Folded Spill
	;; [unrolled: 1-line block ×4, first 2 shown]
	s_nop 0
	buffer_store_dword v100, off, s[36:39], 0 offset:188 ; 4-byte Folded Spill
	buffer_store_dword v101, off, s[36:39], 0 offset:192 ; 4-byte Folded Spill
	;; [unrolled: 1-line block ×3, first 2 shown]
	ds_write_b128 v96, v[9:12] offset:9072
	ds_write_b128 v96, v[13:16] offset:21168
	v_add_u32_e32 v9, 0x276, v97
	v_fma_f64 v[19:20], v[36:37], v[103:104], -v[19:20]
	v_fma_f64 v[23:24], v[72:73], v[92:93], -v[23:24]
	;; [unrolled: 1-line block ×4, first 2 shown]
	ds_write_b128 v96, v[17:20] offset:10080
	ds_write_b128 v96, v[21:24] offset:22176
	ds_write_b128 v96, v[25:28] offset:11088
	ds_write_b128 v96, v[29:32] offset:23184
	s_waitcnt lgkmcnt(0)
	; wave barrier
	s_waitcnt lgkmcnt(0)
	ds_read_b128 v[10:13], v96
	ds_read_b128 v[14:17], v96 offset:1008
	ds_read_b128 v[18:21], v96 offset:12096
	;; [unrolled: 1-line block ×23, first 2 shown]
	s_waitcnt lgkmcnt(14)
	v_add_f64 v[18:19], v[10:11], -v[18:19]
	v_add_f64 v[20:21], v[12:13], -v[20:21]
	;; [unrolled: 1-line block ×8, first 2 shown]
	s_waitcnt lgkmcnt(13)
	v_add_f64 v[50:51], v[42:43], -v[50:51]
	v_add_f64 v[52:53], v[44:45], -v[52:53]
	s_waitcnt lgkmcnt(12)
	v_add_f64 v[54:55], v[46:47], -v[54:55]
	v_add_f64 v[56:57], v[48:49], -v[56:57]
	;; [unrolled: 3-line block ×5, first 2 shown]
	s_waitcnt lgkmcnt(0)
	v_add_f64 v[107:108], v[99:100], -v[107:108]
	v_fma_f64 v[111:112], v[10:11], 2.0, -v[18:19]
	v_fma_f64 v[113:114], v[12:13], 2.0, -v[20:21]
	;; [unrolled: 1-line block ×6, first 2 shown]
	v_add_f64 v[86:87], v[78:79], -v[86:87]
	v_add_f64 v[88:89], v[80:81], -v[88:89]
	v_fma_f64 v[30:31], v[30:31], 2.0, -v[38:39]
	v_fma_f64 v[32:33], v[32:33], 2.0, -v[40:41]
	v_add_f64 v[103:104], v[90:91], -v[103:104]
	v_add_f64 v[105:106], v[92:93], -v[105:106]
	v_fma_f64 v[42:43], v[42:43], 2.0, -v[50:51]
	v_fma_f64 v[44:45], v[44:45], 2.0, -v[52:53]
	v_add_f64 v[109:110], v[101:102], -v[109:110]
	v_fma_f64 v[46:47], v[46:47], 2.0, -v[54:55]
	v_fma_f64 v[48:49], v[48:49], 2.0, -v[56:57]
	;; [unrolled: 1-line block ×9, first 2 shown]
	v_lshlrev_b32_e32 v99, 5, v97
	v_lshlrev_b32_e32 v10, 5, v0
	s_waitcnt lgkmcnt(0)
	; wave barrier
	ds_write_b128 v99, v[111:114]
	ds_write_b128 v99, v[18:21] offset:16
	ds_write_b128 v10, v[12:15]
	buffer_store_dword v10, off, s[36:39], 0 offset:1508 ; 4-byte Folded Spill
	ds_write_b128 v10, v[22:25] offset:16
	v_lshlrev_b32_e32 v10, 5, v4
	v_fma_f64 v[78:79], v[78:79], 2.0, -v[86:87]
	v_fma_f64 v[80:81], v[80:81], 2.0, -v[88:89]
	ds_write_b128 v10, v[26:29]
	buffer_store_dword v10, off, s[36:39], 0 offset:1504 ; 4-byte Folded Spill
	ds_write_b128 v10, v[34:37] offset:16
	v_lshlrev_b32_e32 v10, 5, v98
	v_fma_f64 v[90:91], v[90:91], 2.0, -v[103:104]
	v_fma_f64 v[92:93], v[92:93], 2.0, -v[105:106]
	ds_write_b128 v10, v[30:33]
	buffer_store_dword v10, off, s[36:39], 0 offset:1500 ; 4-byte Folded Spill
	ds_write_b128 v10, v[38:41] offset:16
	v_lshlrev_b32_e32 v10, 5, v6
	v_fma_f64 v[117:118], v[101:102], 2.0, -v[109:110]
	ds_write_b128 v10, v[42:45]
	buffer_store_dword v10, off, s[36:39], 0 offset:1496 ; 4-byte Folded Spill
	ds_write_b128 v10, v[50:53] offset:16
	v_lshlrev_b32_e32 v10, 5, v5
	ds_write_b128 v10, v[46:49]
	buffer_store_dword v10, off, s[36:39], 0 offset:1492 ; 4-byte Folded Spill
	ds_write_b128 v10, v[54:57] offset:16
	v_lshlrev_b32_e32 v10, 5, v3
	v_lshlrev_b32_e32 v11, 1, v97
	ds_write_b128 v10, v[58:61]
	buffer_store_dword v10, off, s[36:39], 0 offset:1488 ; 4-byte Folded Spill
	ds_write_b128 v10, v[66:69] offset:16
	v_lshlrev_b32_e32 v10, 5, v2
	ds_write_b128 v10, v[62:65]
	buffer_store_dword v10, off, s[36:39], 0 offset:1484 ; 4-byte Folded Spill
	ds_write_b128 v10, v[70:73] offset:16
	v_add_u32_e32 v10, 0x3f0, v11
	v_lshlrev_b32_e32 v12, 4, v11
	v_lshlrev_b32_e32 v13, 4, v10
	ds_write_b128 v12, v[74:77] offset:16128
	v_lshlrev_b32_e32 v12, 5, v8
	ds_write_b128 v13, v[82:85] offset:16
	buffer_store_dword v12, off, s[36:39], 0 offset:1476 ; 4-byte Folded Spill
	ds_write_b128 v12, v[86:89] offset:16
	v_lshlrev_b32_e32 v12, 5, v9
	ds_write_b128 v99, v[78:81] offset:18144
	buffer_store_dword v12, off, s[36:39], 0 offset:1472 ; 4-byte Folded Spill
	ds_write_b128 v12, v[103:106] offset:16
	v_lshlrev_b32_e32 v12, 5, v7
	v_and_b32_e32 v23, 1, v97
	buffer_store_dword v13, off, s[36:39], 0 offset:1480 ; 4-byte Folded Spill
	ds_write_b128 v99, v[90:93] offset:20160
	buffer_store_dword v12, off, s[36:39], 0 offset:1452 ; 4-byte Folded Spill
	ds_write_b128 v12, v[107:110] offset:16
	v_lshlrev_b32_e32 v12, 4, v23
	v_and_b32_e32 v22, 1, v7
	v_lshlrev_b32_e32 v13, 4, v136
	ds_write_b128 v99, v[115:118] offset:22176
	s_waitcnt lgkmcnt(0)
	; wave barrier
	s_waitcnt lgkmcnt(0)
	global_load_dwordx4 v[148:151], v12, s[14:15]
	global_load_dwordx4 v[176:179], v13, s[14:15]
	v_lshlrev_b32_e32 v12, 4, v22
	global_load_dwordx4 v[144:147], v12, s[14:15]
	v_lshlrev_b32_e32 v13, 4, v137
	global_load_dwordx2 v[106:107], v13, s[14:15]
	v_lshlrev_b32_e32 v13, 4, v138
	global_load_dwordx4 v[172:175], v13, s[14:15]
	v_lshlrev_b32_e32 v13, 4, v139
	global_load_dwordx4 v[168:171], v13, s[14:15]
	;; [unrolled: 2-line block ×3, first 2 shown]
	global_load_dwordx2 v[134:135], v12, s[14:15] offset:8
	ds_read_b128 v[12:15], v96
	ds_read_b128 v[16:19], v96 offset:1008
	ds_read_b128 v[24:27], v96 offset:12096
	;; [unrolled: 1-line block ×17, first 2 shown]
	s_waitcnt vmcnt(7) lgkmcnt(14)
	v_mul_f64 v[20:21], v[26:27], v[150:151]
	v_mul_f64 v[88:89], v[24:25], v[150:151]
	s_waitcnt lgkmcnt(11)
	v_mul_f64 v[94:95], v[42:43], v[150:151]
	s_waitcnt vmcnt(5)
	v_mul_f64 v[90:91], v[30:31], v[146:147]
	v_mul_f64 v[92:93], v[28:29], v[146:147]
	;; [unrolled: 1-line block ×3, first 2 shown]
	s_waitcnt lgkmcnt(10)
	v_mul_f64 v[102:103], v[46:47], v[178:179]
	v_mul_f64 v[104:105], v[44:45], v[178:179]
	v_fma_f64 v[20:21], v[24:25], v[148:149], -v[20:21]
	v_fma_f64 v[88:89], v[26:27], v[148:149], v[88:89]
	v_fma_f64 v[94:95], v[40:41], v[148:149], -v[94:95]
	s_waitcnt vmcnt(4)
	v_fma_f64 v[90:91], v[28:29], v[106:107], -v[90:91]
	buffer_store_dword v106, off, s[36:39], 0 offset:1512 ; 4-byte Folded Spill
	s_nop 0
	buffer_store_dword v107, off, s[36:39], 0 offset:1516 ; 4-byte Folded Spill
	s_waitcnt lgkmcnt(7)
	v_mul_f64 v[24:25], v[58:59], v[150:151]
	v_mul_f64 v[26:27], v[56:57], v[150:151]
	s_waitcnt vmcnt(5) lgkmcnt(6)
	v_mul_f64 v[28:29], v[62:63], v[174:175]
	s_waitcnt lgkmcnt(5)
	v_mul_f64 v[40:41], v[66:67], v[150:151]
	v_fma_f64 v[100:101], v[42:43], v[148:149], v[100:101]
	v_mul_f64 v[42:43], v[64:65], v[150:151]
	v_fma_f64 v[102:103], v[44:45], v[176:177], -v[102:103]
	v_fma_f64 v[104:105], v[46:47], v[176:177], v[104:105]
	s_waitcnt vmcnt(4) lgkmcnt(4)
	v_mul_f64 v[44:45], v[70:71], v[170:171]
	v_fma_f64 v[108:109], v[58:59], v[148:149], v[26:27]
	v_fma_f64 v[110:111], v[60:61], v[172:173], -v[28:29]
	v_fma_f64 v[114:115], v[64:65], v[148:149], -v[40:41]
	s_waitcnt vmcnt(2) lgkmcnt(0)
	v_mul_f64 v[64:65], v[86:87], v[134:135]
	v_mul_f64 v[46:47], v[68:69], v[170:171]
	v_fma_f64 v[116:117], v[66:67], v[148:149], v[42:43]
	v_mul_f64 v[40:41], v[74:75], v[150:151]
	v_fma_f64 v[118:119], v[68:69], v[168:169], -v[44:45]
	v_mul_f64 v[44:45], v[78:79], v[166:167]
	v_mul_f64 v[42:43], v[72:73], v[150:151]
	;; [unrolled: 1-line block ×3, first 2 shown]
	v_add_f64 v[68:69], v[32:33], -v[94:95]
	v_fma_f64 v[120:121], v[70:71], v[168:169], v[46:47]
	v_mul_f64 v[46:47], v[76:77], v[166:167]
	v_fma_f64 v[122:123], v[72:73], v[148:149], -v[40:41]
	v_add_f64 v[40:41], v[12:13], -v[20:21]
	v_fma_f64 v[126:127], v[76:77], v[164:165], -v[44:45]
	v_add_f64 v[44:45], v[16:17], -v[90:91]
	v_fma_f64 v[124:125], v[74:75], v[148:149], v[42:43]
	v_add_f64 v[42:43], v[14:15], -v[88:89]
	v_fma_f64 v[132:133], v[82:83], v[148:149], v[58:59]
	v_fma_f64 v[128:129], v[78:79], v[164:165], v[46:47]
	v_fma_f64 v[20:21], v[84:85], v[144:145], -v[64:65]
	v_add_f64 v[74:75], v[38:39], -v[104:105]
	v_add_f64 v[70:71], v[34:35], -v[100:101]
	v_fma_f64 v[64:65], v[16:17], 2.0, -v[44:45]
	v_add_f64 v[72:73], v[36:37], -v[102:103]
	v_add_f64 v[78:79], v[50:51], -v[108:109]
	v_fma_f64 v[12:13], v[12:13], 2.0, -v[40:41]
	v_fma_f64 v[14:15], v[14:15], 2.0, -v[42:43]
	;; [unrolled: 1-line block ×7, first 2 shown]
	v_fma_f64 v[92:93], v[30:31], v[106:107], v[92:93]
	v_mul_f64 v[30:31], v[60:61], v[174:175]
	v_fma_f64 v[106:107], v[56:57], v[148:149], -v[24:25]
	v_mul_f64 v[56:57], v[82:83], v[150:151]
	v_add_f64 v[46:47], v[18:19], -v[92:93]
	v_fma_f64 v[112:113], v[62:63], v[172:173], v[30:31]
	ds_read_b128 v[24:27], v96 offset:6048
	ds_read_b128 v[28:31], v96 offset:7056
	buffer_store_dword v134, off, s[36:39], 0 offset:1424 ; 4-byte Folded Spill
	s_nop 0
	buffer_store_dword v135, off, s[36:39], 0 offset:1428 ; 4-byte Folded Spill
	v_fma_f64 v[130:131], v[80:81], v[148:149], -v[56:57]
	ds_read_b128 v[56:59], v96 offset:8064
	ds_read_b128 v[60:63], v96 offset:9072
	v_add_f64 v[76:77], v[48:49], -v[106:107]
	v_add_f64 v[80:81], v[52:53], -v[110:111]
	s_waitcnt lgkmcnt(2)
	v_add_f64 v[88:89], v[28:29], -v[118:119]
	v_add_f64 v[82:83], v[54:55], -v[112:113]
	;; [unrolled: 1-line block ×3, first 2 shown]
	s_waitcnt lgkmcnt(1)
	v_add_f64 v[92:93], v[56:57], -v[122:123]
	v_add_f64 v[94:95], v[58:59], -v[124:125]
	s_waitcnt lgkmcnt(0)
	v_add_f64 v[100:101], v[60:61], -v[126:127]
	v_fma_f64 v[48:49], v[48:49], 2.0, -v[76:77]
	v_fma_f64 v[52:53], v[52:53], 2.0, -v[80:81]
	v_add_f64 v[102:103], v[62:63], -v[128:129]
	v_fma_f64 v[54:55], v[54:55], 2.0, -v[82:83]
	v_fma_f64 v[28:29], v[28:29], 2.0, -v[88:89]
	;; [unrolled: 1-line block ×7, first 2 shown]
	v_mul_f64 v[66:67], v[84:85], v[134:135]
	v_add_f64 v[84:85], v[24:25], -v[114:115]
	v_fma_f64 v[134:135], v[86:87], v[144:145], v[66:67]
	v_fma_f64 v[66:67], v[18:19], 2.0, -v[46:47]
	ds_read_b128 v[16:19], v96 offset:10080
	ds_read_b128 v[104:107], v96 offset:11088
	v_add_f64 v[86:87], v[26:27], -v[116:117]
	s_waitcnt lgkmcnt(0)
	; wave barrier
	s_waitcnt lgkmcnt(0)
	v_add_f64 v[108:109], v[16:17], -v[130:131]
	v_add_f64 v[110:111], v[18:19], -v[132:133]
	;; [unrolled: 1-line block ×3, first 2 shown]
	v_lshlrev_b32_e32 v21, 1, v0
	v_lshlrev_b32_e32 v20, 1, v4
	v_add_f64 v[118:119], v[106:107], -v[134:135]
	v_fma_f64 v[24:25], v[24:25], 2.0, -v[84:85]
	v_fma_f64 v[26:27], v[26:27], 2.0, -v[86:87]
	;; [unrolled: 1-line block ×3, first 2 shown]
	v_and_or_b32 v16, v11, s1, v23
	v_lshlrev_b32_e32 v16, 4, v16
	ds_write_b128 v16, v[12:15]
	v_and_or_b32 v12, v21, s0, v137
	s_movk_i32 s0, 0x1fc
	ds_write_b128 v16, v[40:43] offset:32
	v_and_or_b32 v40, v20, s0, v23
	v_fma_f64 v[114:115], v[18:19], 2.0, -v[110:111]
	v_lshlrev_b32_e32 v19, 1, v98
	v_lshlrev_b32_e32 v12, 4, v12
	;; [unrolled: 1-line block ×3, first 2 shown]
	ds_write_b128 v12, v[64:67]
	ds_write_b128 v12, v[44:47] offset:32
	ds_write_b128 v40, v[32:35]
	v_and_or_b32 v32, v19, s0, v136
	v_lshlrev_b32_e32 v18, 1, v6
	v_lshlrev_b32_e32 v32, 4, v32
	s_movk_i32 s0, 0x3fc
	ds_write_b128 v40, v[68:71] offset:32
	ds_write_b128 v32, v[36:39]
	buffer_store_dword v32, off, s[36:39], 0 offset:1440 ; 4-byte Folded Spill
	ds_write_b128 v32, v[72:75] offset:32
	v_and_or_b32 v32, v18, s0, v23
	v_lshlrev_b32_e32 v17, 1, v5
	v_lshlrev_b32_e32 v32, 4, v32
	s_movk_i32 s1, 0x2fc
	ds_write_b128 v32, v[48:51]
	buffer_store_dword v32, off, s[36:39], 0 offset:1432 ; 4-byte Folded Spill
	ds_write_b128 v32, v[76:79] offset:32
	v_and_or_b32 v32, v17, s1, v138
	buffer_store_dword v16, off, s[36:39], 0 offset:1416 ; 4-byte Folded Spill
	v_lshlrev_b32_e32 v16, 1, v3
	v_lshlrev_b32_e32 v32, 4, v32
	ds_write_b128 v32, v[52:55]
	buffer_store_dword v32, off, s[36:39], 0 offset:1420 ; 4-byte Folded Spill
	ds_write_b128 v32, v[80:83] offset:32
	v_and_or_b32 v32, v16, s0, v23
	v_fma_f64 v[104:105], v[104:105], 2.0, -v[116:117]
	v_fma_f64 v[106:107], v[106:107], 2.0, -v[118:119]
	v_lshlrev_b32_e32 v15, 1, v2
	v_lshlrev_b32_e32 v32, 4, v32
	ds_write_b128 v32, v[24:27]
	v_and_or_b32 v24, v15, s0, v139
	v_lshlrev_b32_e32 v24, 4, v24
	s_movk_i32 s0, 0x7fc
	ds_write_b128 v32, v[84:87] offset:32
	ds_write_b128 v24, v[28:31]
	buffer_store_dword v24, off, s[36:39], 0 offset:1404 ; 4-byte Folded Spill
	ds_write_b128 v24, v[88:91] offset:32
	v_and_or_b32 v24, v10, s0, v23
	v_lshlrev_b32_e32 v14, 1, v8
	v_lshlrev_b32_e32 v24, 4, v24
	s_movk_i32 s0, 0x4fc
	buffer_store_dword v12, off, s[36:39], 0 offset:1412 ; 4-byte Folded Spill
	v_lshlrev_b32_e32 v13, 1, v9
	v_lshlrev_b32_e32 v12, 1, v7
	ds_write_b128 v24, v[56:59]
	buffer_store_dword v24, off, s[36:39], 0 offset:1400 ; 4-byte Folded Spill
	ds_write_b128 v24, v[92:95] offset:32
	v_and_or_b32 v24, v14, s0, v140
	s_movk_i32 s0, 0x5fc
	v_and_or_b32 v23, v13, s0, v23
	v_and_or_b32 v22, v12, s0, v22
	v_and_b32_e32 v9, 3, v9
	v_lshlrev_b32_e32 v24, 4, v24
	v_lshlrev_b32_e32 v23, 4, v23
	;; [unrolled: 1-line block ×5, first 2 shown]
	buffer_store_dword v40, off, s[36:39], 0 offset:1436 ; 4-byte Folded Spill
	buffer_store_dword v32, off, s[36:39], 0 offset:1408 ; 4-byte Folded Spill
	ds_write_b128 v24, v[60:63]
	buffer_store_dword v24, off, s[36:39], 0 offset:1396 ; 4-byte Folded Spill
	ds_write_b128 v24, v[100:103] offset:32
	ds_write_b128 v23, v[112:115]
	buffer_store_dword v23, off, s[36:39], 0 offset:1392 ; 4-byte Folded Spill
	ds_write_b128 v23, v[108:111] offset:32
	;; [unrolled: 3-line block ×3, first 2 shown]
	s_waitcnt lgkmcnt(0)
	; wave barrier
	s_waitcnt lgkmcnt(0)
	global_load_dwordx4 v[128:131], v38, s[14:15] offset:32
	global_load_dwordx4 v[120:123], v56, s[14:15] offset:32
	v_lshlrev_b32_e32 v8, 4, v142
	v_lshlrev_b32_e32 v7, 4, v180
	global_load_dwordx2 v[57:58], v8, s[14:15] offset:32
	global_load_dwordx2 v[64:65], v7, s[14:15] offset:32
	v_and_b32_e32 v140, 3, v97
	v_lshlrev_b32_e32 v22, 4, v140
	global_load_dwordx4 v[100:103], v22, s[14:15] offset:32
	v_lshlrev_b32_e32 v7, 4, v181
	global_load_dwordx2 v[62:63], v7, s[14:15] offset:32
	v_lshlrev_b32_e32 v7, 4, v182
	v_lshlrev_b32_e32 v54, 4, v143
	global_load_dwordx4 v[152:155], v7, s[14:15] offset:32
	v_lshlrev_b32_e32 v7, 4, v183
	global_load_dwordx4 v[124:127], v54, s[14:15] offset:32
	global_load_dwordx4 v[156:159], v7, s[14:15] offset:32
	ds_read_b128 v[22:25], v96 offset:12096
	ds_read_b128 v[26:29], v96 offset:13104
	;; [unrolled: 1-line block ×4, first 2 shown]
	global_load_dwordx2 v[70:71], v38, s[14:15] offset:40
	ds_read_b128 v[38:41], v96 offset:16128
	ds_read_b128 v[42:45], v96 offset:17136
	global_load_dwordx2 v[60:61], v54, s[14:15] offset:40
	s_movk_i32 s0, 0x78
	s_movk_i32 s1, 0x2f8
	s_waitcnt vmcnt(10) lgkmcnt(4)
	v_mul_f64 v[48:49], v[28:29], v[130:131]
	s_waitcnt vmcnt(9) lgkmcnt(3)
	v_mul_f64 v[50:51], v[32:33], v[122:123]
	v_mul_f64 v[52:53], v[30:31], v[122:123]
	s_waitcnt vmcnt(8)
	v_fma_f64 v[48:49], v[26:27], v[57:58], -v[48:49]
	buffer_store_dword v57, off, s[36:39], 0 offset:1444 ; 4-byte Folded Spill
	s_nop 0
	buffer_store_dword v58, off, s[36:39], 0 offset:1448 ; 4-byte Folded Spill
	s_waitcnt vmcnt(9)
	v_fma_f64 v[50:51], v[30:31], v[64:65], -v[50:51]
	buffer_store_dword v64, off, s[36:39], 0 offset:1464 ; 4-byte Folded Spill
	s_nop 0
	buffer_store_dword v65, off, s[36:39], 0 offset:1468 ; 4-byte Folded Spill
	s_waitcnt vmcnt(10)
	v_mul_f64 v[7:8], v[24:25], v[102:103]
	v_mul_f64 v[46:47], v[22:23], v[102:103]
	s_waitcnt vmcnt(8) lgkmcnt(0)
	v_mul_f64 v[30:31], v[42:43], v[154:155]
	v_fma_f64 v[7:8], v[22:23], v[100:101], -v[7:8]
	v_mul_f64 v[22:23], v[26:27], v[130:131]
	v_fma_f64 v[46:47], v[24:25], v[100:101], v[46:47]
	s_waitcnt vmcnt(7)
	v_mul_f64 v[24:25], v[36:37], v[126:127]
	v_mul_f64 v[26:27], v[34:35], v[126:127]
	v_fma_f64 v[68:69], v[44:45], v[152:153], v[30:31]
	v_fma_f64 v[54:55], v[28:29], v[57:58], v[22:23]
	v_mul_f64 v[22:23], v[40:41], v[102:103]
	v_fma_f64 v[52:53], v[32:33], v[64:65], v[52:53]
	global_load_dwordx2 v[32:33], v56, s[14:15] offset:40
	v_fma_f64 v[56:57], v[34:35], v[62:63], -v[24:25]
	buffer_store_dword v62, off, s[36:39], 0 offset:1456 ; 4-byte Folded Spill
	s_nop 0
	buffer_store_dword v63, off, s[36:39], 0 offset:1460 ; 4-byte Folded Spill
	v_mul_f64 v[28:29], v[38:39], v[102:103]
	v_fma_f64 v[64:65], v[40:41], v[100:101], v[28:29]
	v_fma_f64 v[58:59], v[36:37], v[62:63], v[26:27]
	v_mul_f64 v[26:27], v[44:45], v[154:155]
	v_fma_f64 v[62:63], v[38:39], v[100:101], -v[22:23]
	ds_read_b128 v[22:25], v96 offset:18144
	v_fma_f64 v[66:67], v[42:43], v[152:153], -v[26:27]
	ds_read_b128 v[26:29], v96 offset:19152
	s_waitcnt vmcnt(9) lgkmcnt(1)
	v_mul_f64 v[30:31], v[24:25], v[158:159]
	v_fma_f64 v[78:79], v[22:23], v[156:157], -v[30:31]
	v_mul_f64 v[22:23], v[22:23], v[158:159]
	v_fma_f64 v[80:81], v[24:25], v[156:157], v[22:23]
	v_lshlrev_b32_e32 v22, 4, v184
	global_load_dwordx4 v[160:163], v22, s[14:15] offset:32
	s_waitcnt vmcnt(0) lgkmcnt(0)
	v_mul_f64 v[22:23], v[28:29], v[162:163]
	v_fma_f64 v[82:83], v[26:27], v[160:161], -v[22:23]
	v_mul_f64 v[22:23], v[26:27], v[162:163]
	v_fma_f64 v[84:85], v[28:29], v[160:161], v[22:23]
	ds_read_b128 v[22:25], v96 offset:20160
	ds_read_b128 v[26:29], v96 offset:21168
	s_waitcnt lgkmcnt(1)
	v_mul_f64 v[30:31], v[24:25], v[102:103]
	v_fma_f64 v[94:95], v[22:23], v[100:101], -v[30:31]
	v_mul_f64 v[22:23], v[22:23], v[102:103]
	v_fma_f64 v[106:107], v[24:25], v[100:101], v[22:23]
	s_waitcnt lgkmcnt(0)
	v_mul_f64 v[22:23], v[28:29], v[70:71]
	buffer_store_dword v70, off, s[36:39], 0 offset:1372 ; 4-byte Folded Spill
	s_nop 0
	buffer_store_dword v71, off, s[36:39], 0 offset:1376 ; 4-byte Folded Spill
	v_fma_f64 v[108:109], v[26:27], v[128:129], -v[22:23]
	v_mul_f64 v[22:23], v[26:27], v[70:71]
	v_fma_f64 v[110:111], v[28:29], v[128:129], v[22:23]
	ds_read_b128 v[22:25], v96 offset:22176
	ds_read_b128 v[26:29], v96 offset:23184
	s_waitcnt lgkmcnt(1)
	v_mul_f64 v[30:31], v[24:25], v[32:33]
	buffer_store_dword v32, off, s[36:39], 0 offset:1380 ; 4-byte Folded Spill
	s_nop 0
	buffer_store_dword v33, off, s[36:39], 0 offset:1384 ; 4-byte Folded Spill
	v_fma_f64 v[132:133], v[22:23], v[120:121], -v[30:31]
	v_mul_f64 v[22:23], v[22:23], v[32:33]
	v_fma_f64 v[134:135], v[24:25], v[120:121], v[22:23]
	s_waitcnt lgkmcnt(0)
	v_mul_f64 v[22:23], v[28:29], v[60:61]
	buffer_store_dword v60, off, s[36:39], 0 offset:1364 ; 4-byte Folded Spill
	s_nop 0
	buffer_store_dword v61, off, s[36:39], 0 offset:1368 ; 4-byte Folded Spill
	v_fma_f64 v[136:137], v[26:27], v[124:125], -v[22:23]
	v_mul_f64 v[22:23], v[26:27], v[60:61]
	v_fma_f64 v[138:139], v[28:29], v[124:125], v[22:23]
	ds_read_b128 v[22:25], v96
	ds_read_b128 v[26:29], v96 offset:1008
	ds_read_b128 v[38:41], v96 offset:2016
	;; [unrolled: 1-line block ×3, first 2 shown]
	s_waitcnt lgkmcnt(3)
	v_add_f64 v[30:31], v[22:23], -v[7:8]
	v_add_f64 v[32:33], v[24:25], -v[46:47]
	s_waitcnt lgkmcnt(2)
	v_add_f64 v[34:35], v[26:27], -v[48:49]
	v_add_f64 v[36:37], v[28:29], -v[54:55]
	;; [unrolled: 3-line block ×4, first 2 shown]
	ds_read_b128 v[54:57], v96 offset:4032
	ds_read_b128 v[58:61], v96 offset:5040
	v_fma_f64 v[22:23], v[22:23], 2.0, -v[30:31]
	v_fma_f64 v[24:25], v[24:25], 2.0, -v[32:33]
	ds_read_b128 v[70:73], v96 offset:6048
	ds_read_b128 v[74:77], v96 offset:7056
	s_waitcnt lgkmcnt(3)
	v_add_f64 v[62:63], v[54:55], -v[62:63]
	v_add_f64 v[64:65], v[56:57], -v[64:65]
	v_fma_f64 v[26:27], v[26:27], 2.0, -v[34:35]
	v_fma_f64 v[28:29], v[28:29], 2.0, -v[36:37]
	s_waitcnt lgkmcnt(2)
	v_add_f64 v[66:67], v[58:59], -v[66:67]
	v_add_f64 v[68:69], v[60:61], -v[68:69]
	v_fma_f64 v[38:39], v[38:39], 2.0, -v[46:47]
	v_fma_f64 v[40:41], v[40:41], 2.0, -v[48:49]
	s_waitcnt lgkmcnt(1)
	v_add_f64 v[78:79], v[70:71], -v[78:79]
	v_add_f64 v[80:81], v[72:73], -v[80:81]
	ds_read_b128 v[86:89], v96 offset:8064
	ds_read_b128 v[90:93], v96 offset:9072
	v_fma_f64 v[42:43], v[42:43], 2.0, -v[50:51]
	v_fma_f64 v[44:45], v[44:45], 2.0, -v[52:53]
	s_waitcnt lgkmcnt(2)
	v_add_f64 v[82:83], v[74:75], -v[82:83]
	v_add_f64 v[84:85], v[76:77], -v[84:85]
	v_and_or_b32 v7, v11, s0, v140
	v_lshlrev_b32_e32 v7, 4, v7
	s_movk_i32 s0, 0xf8
	v_fma_f64 v[54:55], v[54:55], 2.0, -v[62:63]
	v_fma_f64 v[56:57], v[56:57], 2.0, -v[64:65]
	s_waitcnt lgkmcnt(1)
	v_add_f64 v[104:105], v[86:87], -v[94:95]
	v_add_f64 v[106:107], v[88:89], -v[106:107]
	ds_read_b128 v[112:115], v96 offset:10080
	ds_read_b128 v[116:119], v96 offset:11088
	s_waitcnt lgkmcnt(0)
	; wave barrier
	s_waitcnt lgkmcnt(0)
	ds_write_b128 v7, v[22:25]
	buffer_store_dword v7, off, s[36:39], 0 offset:1360 ; 4-byte Folded Spill
	ds_write_b128 v7, v[30:33] offset:64
	v_and_or_b32 v7, v21, s0, v142
	v_lshlrev_b32_e32 v7, 4, v7
	s_movk_i32 s0, 0x1f8
	v_fma_f64 v[58:59], v[58:59], 2.0, -v[66:67]
	v_fma_f64 v[60:61], v[60:61], 2.0, -v[68:69]
	v_add_f64 v[108:109], v[90:91], -v[108:109]
	v_add_f64 v[110:111], v[92:93], -v[110:111]
	ds_write_b128 v7, v[26:29]
	buffer_store_dword v7, off, s[36:39], 0 offset:1356 ; 4-byte Folded Spill
	ds_write_b128 v7, v[34:37] offset:64
	v_and_or_b32 v7, v20, s0, v180
	v_lshlrev_b32_e32 v7, 4, v7
	v_fma_f64 v[70:71], v[70:71], 2.0, -v[78:79]
	v_fma_f64 v[72:73], v[72:73], 2.0, -v[80:81]
	v_add_f64 v[132:133], v[112:113], -v[132:133]
	v_add_f64 v[134:135], v[114:115], -v[134:135]
	ds_write_b128 v7, v[38:41]
	buffer_store_dword v7, off, s[36:39], 0 offset:1352 ; 4-byte Folded Spill
	ds_write_b128 v7, v[46:49] offset:64
	v_and_or_b32 v7, v19, s0, v181
	v_lshlrev_b32_e32 v7, 4, v7
	s_movk_i32 s0, 0x3f8
	v_fma_f64 v[74:75], v[74:75], 2.0, -v[82:83]
	v_fma_f64 v[76:77], v[76:77], 2.0, -v[84:85]
	v_add_f64 v[136:137], v[116:117], -v[136:137]
	v_add_f64 v[138:139], v[118:119], -v[138:139]
	ds_write_b128 v7, v[42:45]
	buffer_store_dword v7, off, s[36:39], 0 offset:1348 ; 4-byte Folded Spill
	ds_write_b128 v7, v[50:53] offset:64
	v_and_or_b32 v7, v18, s0, v140
	v_lshlrev_b32_e32 v7, 4, v7
	v_fma_f64 v[86:87], v[86:87], 2.0, -v[104:105]
	v_fma_f64 v[88:89], v[88:89], 2.0, -v[106:107]
	ds_write_b128 v7, v[54:57]
	buffer_store_dword v7, off, s[36:39], 0 offset:1344 ; 4-byte Folded Spill
	ds_write_b128 v7, v[62:65] offset:64
	v_and_or_b32 v7, v17, s1, v182
	v_lshlrev_b32_e32 v7, 4, v7
	v_fma_f64 v[90:91], v[90:91], 2.0, -v[108:109]
	v_fma_f64 v[92:93], v[92:93], 2.0, -v[110:111]
	;; [unrolled: 7-line block ×3, first 2 shown]
	ds_write_b128 v7, v[70:73]
	buffer_store_dword v7, off, s[36:39], 0 offset:1336 ; 4-byte Folded Spill
	ds_write_b128 v7, v[78:81] offset:64
	v_and_or_b32 v7, v15, s0, v184
	v_lshlrev_b32_e32 v7, 4, v7
	s_movk_i32 s0, 0x7f8
	v_fma_f64 v[116:117], v[116:117], 2.0, -v[136:137]
	v_fma_f64 v[118:119], v[118:119], 2.0, -v[138:139]
	ds_write_b128 v7, v[74:77]
	buffer_store_dword v7, off, s[36:39], 0 offset:1332 ; 4-byte Folded Spill
	ds_write_b128 v7, v[82:85] offset:64
	v_and_or_b32 v7, v10, s0, v140
	v_lshlrev_b32_e32 v7, 4, v7
	s_movk_i32 s0, 0x4f8
	ds_write_b128 v7, v[86:89]
	buffer_store_dword v7, off, s[36:39], 0 offset:1328 ; 4-byte Folded Spill
	ds_write_b128 v7, v[104:107] offset:64
	v_and_or_b32 v7, v14, s0, v141
	v_lshlrev_b32_e32 v7, 4, v7
	s_movk_i32 s0, 0x5f8
	ds_write_b128 v7, v[90:93]
	buffer_store_dword v7, off, s[36:39], 0 offset:1316 ; 4-byte Folded Spill
	ds_write_b128 v7, v[108:111] offset:64
	v_and_or_b32 v7, v13, s0, v9
	v_lshlrev_b32_e32 v7, 4, v7
	ds_write_b128 v7, v[112:115]
	buffer_store_dword v7, off, s[36:39], 0 offset:1320 ; 4-byte Folded Spill
	ds_write_b128 v7, v[132:135] offset:64
	v_and_or_b32 v7, v12, s0, v143
	v_lshlrev_b32_e32 v7, 4, v7
	ds_write_b128 v7, v[116:119]
	buffer_store_dword v7, off, s[36:39], 0 offset:1324 ; 4-byte Folded Spill
	ds_write_b128 v7, v[136:139] offset:64
	v_and_b32_e32 v7, 7, v97
	v_lshlrev_b32_e32 v8, 5, v7
	s_waitcnt lgkmcnt(0)
	; wave barrier
	s_waitcnt lgkmcnt(0)
	global_load_dwordx4 v[72:75], v8, s[14:15] offset:96
	global_load_dwordx4 v[31:34], v8, s[14:15] offset:112
	v_and_b32_e32 v8, 7, v0
	v_lshlrev_b32_e32 v9, 5, v8
	global_load_dwordx4 v[76:79], v9, s[14:15] offset:96
	global_load_dwordx4 v[39:42], v9, s[14:15] offset:112
	ds_read_b128 v[9:12], v96 offset:8064
	ds_read_b128 v[13:16], v96 offset:9072
	;; [unrolled: 1-line block ×4, first 2 shown]
	v_and_b32_e32 v59, 7, v6
	v_and_b32_e32 v64, 7, v5
	;; [unrolled: 1-line block ×4, first 2 shown]
	s_mov_b32 s0, 0xe8584caa
	s_mov_b32 s1, 0x3febb67a
	;; [unrolled: 1-line block ×3, first 2 shown]
	v_lshrrev_b32_e32 v67, 3, v97
	v_mul_u32_u24_e32 v67, 24, v67
	v_or_b32_e32 v7, v67, v7
	v_lshlrev_b32_e32 v7, 4, v7
	s_waitcnt vmcnt(3) lgkmcnt(3)
	v_mul_f64 v[25:26], v[11:12], v[74:75]
	v_mul_f64 v[27:28], v[9:10], v[74:75]
	v_fma_f64 v[25:26], v[9:10], v[72:73], -v[25:26]
	s_waitcnt vmcnt(2) lgkmcnt(1)
	v_mul_f64 v[9:10], v[19:20], v[33:34]
	v_fma_f64 v[27:28], v[11:12], v[72:73], v[27:28]
	v_mul_f64 v[11:12], v[17:18], v[33:34]
	v_fma_f64 v[29:30], v[17:18], v[31:32], -v[9:10]
	buffer_store_dword v31, off, s[36:39], 0 offset:1284 ; 4-byte Folded Spill
	s_nop 0
	buffer_store_dword v32, off, s[36:39], 0 offset:1288 ; 4-byte Folded Spill
	buffer_store_dword v33, off, s[36:39], 0 offset:1292 ; 4-byte Folded Spill
	;; [unrolled: 1-line block ×3, first 2 shown]
	s_waitcnt vmcnt(5)
	v_mul_f64 v[9:10], v[15:16], v[78:79]
	v_fma_f64 v[33:34], v[13:14], v[76:77], -v[9:10]
	s_waitcnt vmcnt(4) lgkmcnt(0)
	v_mul_f64 v[9:10], v[23:24], v[41:42]
	v_fma_f64 v[37:38], v[21:22], v[39:40], -v[9:10]
	v_and_b32_e32 v9, 7, v4
	v_fma_f64 v[31:32], v[19:20], v[31:32], v[11:12]
	v_mul_f64 v[11:12], v[13:14], v[78:79]
	v_lshlrev_b32_e32 v20, 5, v9
	v_fma_f64 v[35:36], v[15:16], v[76:77], v[11:12]
	v_mul_f64 v[11:12], v[21:22], v[41:42]
	buffer_store_dword v39, off, s[36:39], 0 offset:1300 ; 4-byte Folded Spill
	s_nop 0
	buffer_store_dword v40, off, s[36:39], 0 offset:1304 ; 4-byte Folded Spill
	buffer_store_dword v41, off, s[36:39], 0 offset:1308 ; 4-byte Folded Spill
	;; [unrolled: 1-line block ×3, first 2 shown]
	global_load_dwordx4 v[80:83], v20, s[14:15] offset:96
	v_fma_f64 v[39:40], v[23:24], v[39:40], v[11:12]
	ds_read_b128 v[10:13], v96 offset:10080
	ds_read_b128 v[14:17], v96 offset:11088
	global_load_dwordx4 v[88:91], v20, s[14:15] offset:112
	s_waitcnt vmcnt(1) lgkmcnt(1)
	v_mul_f64 v[18:19], v[12:13], v[82:83]
	v_fma_f64 v[43:44], v[10:11], v[80:81], -v[18:19]
	v_mul_f64 v[10:11], v[10:11], v[82:83]
	v_fma_f64 v[45:46], v[12:13], v[80:81], v[10:11]
	ds_read_b128 v[10:13], v96 offset:18144
	ds_read_b128 v[18:21], v96 offset:19152
	s_waitcnt vmcnt(0) lgkmcnt(1)
	v_mul_f64 v[22:23], v[12:13], v[90:91]
	v_fma_f64 v[47:48], v[10:11], v[88:89], -v[22:23]
	v_mul_f64 v[10:11], v[10:11], v[90:91]
	v_add_f64 v[180:181], v[43:44], v[47:48]
	v_fma_f64 v[49:50], v[12:13], v[88:89], v[10:11]
	v_and_b32_e32 v10, 7, v98
	v_lshlrev_b32_e32 v13, 5, v10
	global_load_dwordx4 v[84:87], v13, s[14:15] offset:96
	global_load_dwordx4 v[92:95], v13, s[14:15] offset:112
	v_add_f64 v[182:183], v[45:46], v[49:50]
	s_waitcnt vmcnt(1)
	v_mul_f64 v[11:12], v[16:17], v[86:87]
	v_fma_f64 v[51:52], v[14:15], v[84:85], -v[11:12]
	v_mul_f64 v[11:12], v[14:15], v[86:87]
	v_fma_f64 v[53:54], v[16:17], v[84:85], v[11:12]
	s_waitcnt vmcnt(0) lgkmcnt(0)
	v_mul_f64 v[11:12], v[20:21], v[94:95]
	v_fma_f64 v[55:56], v[18:19], v[92:93], -v[11:12]
	v_mul_f64 v[11:12], v[18:19], v[94:95]
	v_fma_f64 v[57:58], v[20:21], v[92:93], v[11:12]
	v_lshlrev_b32_e32 v21, 5, v59
	global_load_dwordx4 v[60:63], v21, s[14:15] offset:96
	ds_read_b128 v[11:14], v96 offset:12096
	ds_read_b128 v[15:18], v96 offset:13104
	global_load_dwordx4 v[104:107], v21, s[14:15] offset:112
	s_waitcnt vmcnt(1) lgkmcnt(1)
	v_mul_f64 v[19:20], v[13:14], v[62:63]
	v_fma_f64 v[188:189], v[11:12], v[60:61], -v[19:20]
	v_mul_f64 v[11:12], v[11:12], v[62:63]
	v_fma_f64 v[190:191], v[13:14], v[60:61], v[11:12]
	ds_read_b128 v[11:14], v96 offset:20160
	ds_read_b128 v[19:22], v96 offset:21168
	s_waitcnt vmcnt(0) lgkmcnt(1)
	v_mul_f64 v[23:24], v[13:14], v[106:107]
	v_fma_f64 v[192:193], v[11:12], v[104:105], -v[23:24]
	v_mul_f64 v[11:12], v[11:12], v[106:107]
	v_add_f64 v[204:205], v[188:189], v[192:193]
	v_fma_f64 v[194:195], v[13:14], v[104:105], v[11:12]
	v_lshlrev_b32_e32 v13, 5, v64
	global_load_dwordx4 v[108:111], v13, s[14:15] offset:96
	global_load_dwordx4 v[112:115], v13, s[14:15] offset:112
	v_add_f64 v[206:207], v[190:191], v[194:195]
	s_waitcnt vmcnt(1)
	v_mul_f64 v[11:12], v[17:18], v[110:111]
	v_fma_f64 v[196:197], v[15:16], v[108:109], -v[11:12]
	v_mul_f64 v[11:12], v[15:16], v[110:111]
	v_fma_f64 v[198:199], v[17:18], v[108:109], v[11:12]
	s_waitcnt vmcnt(0) lgkmcnt(0)
	v_mul_f64 v[11:12], v[21:22], v[114:115]
	v_fma_f64 v[200:201], v[19:20], v[112:113], -v[11:12]
	v_mul_f64 v[11:12], v[19:20], v[114:115]
	v_fma_f64 v[202:203], v[21:22], v[112:113], v[11:12]
	v_lshlrev_b32_e32 v21, 5, v65
	global_load_dwordx4 v[116:119], v21, s[14:15] offset:96
	ds_read_b128 v[11:14], v96 offset:14112
	ds_read_b128 v[15:18], v96 offset:15120
	global_load_dwordx4 v[132:135], v21, s[14:15] offset:112
	s_waitcnt vmcnt(1) lgkmcnt(1)
	v_mul_f64 v[19:20], v[13:14], v[118:119]
	v_fma_f64 v[212:213], v[11:12], v[116:117], -v[19:20]
	v_mul_f64 v[11:12], v[11:12], v[118:119]
	v_fma_f64 v[214:215], v[13:14], v[116:117], v[11:12]
	ds_read_b128 v[11:14], v96 offset:22176
	ds_read_b128 v[19:22], v96 offset:23184
	s_waitcnt vmcnt(0) lgkmcnt(1)
	v_mul_f64 v[23:24], v[13:14], v[134:135]
	v_fma_f64 v[216:217], v[11:12], v[132:133], -v[23:24]
	v_mul_f64 v[11:12], v[11:12], v[134:135]
	v_add_f64 v[23:24], v[27:28], -v[31:32]
	v_add_f64 v[228:229], v[212:213], v[216:217]
	v_fma_f64 v[218:219], v[13:14], v[132:133], v[11:12]
	v_lshlrev_b32_e32 v13, 5, v66
	global_load_dwordx4 v[136:139], v13, s[14:15] offset:96
	global_load_dwordx4 v[140:143], v13, s[14:15] offset:112
	v_add_f64 v[230:231], v[214:215], v[218:219]
	s_waitcnt vmcnt(1)
	v_mul_f64 v[11:12], v[17:18], v[138:139]
	v_fma_f64 v[220:221], v[15:16], v[136:137], -v[11:12]
	v_mul_f64 v[11:12], v[15:16], v[138:139]
	v_fma_f64 v[222:223], v[17:18], v[136:137], v[11:12]
	s_waitcnt vmcnt(0) lgkmcnt(0)
	v_mul_f64 v[11:12], v[21:22], v[142:143]
	v_fma_f64 v[224:225], v[19:20], v[140:141], -v[11:12]
	v_mul_f64 v[11:12], v[19:20], v[142:143]
	v_add_f64 v[19:20], v[25:26], v[29:30]
	v_fma_f64 v[226:227], v[21:22], v[140:141], v[11:12]
	ds_read_b128 v[11:14], v96
	ds_read_b128 v[15:18], v96 offset:1008
	s_waitcnt lgkmcnt(1)
	v_fma_f64 v[21:22], v[19:20], -0.5, v[11:12]
	v_add_f64 v[19:20], v[27:28], v[31:32]
	v_add_f64 v[11:12], v[11:12], v[25:26]
	v_add_f64 v[25:26], v[25:26], -v[29:30]
	v_fma_f64 v[41:42], v[19:20], -0.5, v[13:14]
	v_add_f64 v[13:14], v[13:14], v[27:28]
	v_add_f64 v[27:28], v[33:34], v[37:38]
	v_add_f64 v[11:12], v[11:12], v[29:30]
	v_fma_f64 v[19:20], v[23:24], s[0:1], v[21:22]
	v_fma_f64 v[23:24], v[23:24], s[2:3], v[21:22]
	;; [unrolled: 1-line block ×3, first 2 shown]
	v_add_f64 v[13:14], v[13:14], v[31:32]
	s_waitcnt lgkmcnt(0)
	v_fma_f64 v[29:30], v[27:28], -0.5, v[15:16]
	v_add_f64 v[27:28], v[35:36], v[39:40]
	v_fma_f64 v[25:26], v[25:26], s[0:1], v[41:42]
	v_add_f64 v[15:16], v[15:16], v[33:34]
	v_add_f64 v[31:32], v[35:36], -v[39:40]
	v_add_f64 v[33:34], v[33:34], -v[37:38]
	v_fma_f64 v[41:42], v[27:28], -0.5, v[17:18]
	v_add_f64 v[17:18], v[17:18], v[35:36]
	v_add_f64 v[15:16], v[15:16], v[37:38]
	v_fma_f64 v[27:28], v[31:32], s[0:1], v[29:30]
	v_fma_f64 v[31:32], v[31:32], s[2:3], v[29:30]
	;; [unrolled: 1-line block ×3, first 2 shown]
	v_add_f64 v[17:18], v[17:18], v[39:40]
	v_fma_f64 v[33:34], v[33:34], s[0:1], v[41:42]
	ds_read_b128 v[35:38], v96 offset:2016
	ds_read_b128 v[39:42], v96 offset:3024
	s_waitcnt lgkmcnt(1)
	v_fma_f64 v[182:183], v[182:183], -0.5, v[37:38]
	v_add_f64 v[37:38], v[37:38], v[45:46]
	v_fma_f64 v[180:181], v[180:181], -0.5, v[35:36]
	v_add_f64 v[35:36], v[35:36], v[43:44]
	v_add_f64 v[45:46], v[45:46], -v[49:50]
	v_add_f64 v[37:38], v[37:38], v[49:50]
	v_add_f64 v[49:50], v[43:44], -v[47:48]
	v_add_f64 v[35:36], v[35:36], v[47:48]
	v_fma_f64 v[43:44], v[45:46], s[0:1], v[180:181]
	v_fma_f64 v[47:48], v[45:46], s[2:3], v[180:181]
	v_add_f64 v[180:181], v[51:52], v[55:56]
	v_fma_f64 v[45:46], v[49:50], s[2:3], v[182:183]
	v_fma_f64 v[49:50], v[49:50], s[0:1], v[182:183]
	v_add_f64 v[182:183], v[53:54], v[57:58]
	s_waitcnt lgkmcnt(0)
	v_fma_f64 v[180:181], v[180:181], -0.5, v[39:40]
	v_add_f64 v[39:40], v[39:40], v[51:52]
	v_fma_f64 v[182:183], v[182:183], -0.5, v[41:42]
	v_add_f64 v[41:42], v[41:42], v[53:54]
	v_add_f64 v[53:54], v[53:54], -v[57:58]
	v_add_f64 v[39:40], v[39:40], v[55:56]
	v_add_f64 v[41:42], v[41:42], v[57:58]
	v_add_f64 v[57:58], v[51:52], -v[55:56]
	v_fma_f64 v[51:52], v[53:54], s[0:1], v[180:181]
	v_fma_f64 v[55:56], v[53:54], s[2:3], v[180:181]
	;; [unrolled: 1-line block ×4, first 2 shown]
	ds_read_b128 v[180:183], v96 offset:4032
	ds_read_b128 v[184:187], v96 offset:5040
	s_waitcnt lgkmcnt(1)
	v_fma_f64 v[206:207], v[206:207], -0.5, v[182:183]
	v_add_f64 v[182:183], v[182:183], v[190:191]
	v_fma_f64 v[204:205], v[204:205], -0.5, v[180:181]
	v_add_f64 v[180:181], v[180:181], v[188:189]
	v_add_f64 v[190:191], v[190:191], -v[194:195]
	v_add_f64 v[182:183], v[182:183], v[194:195]
	v_add_f64 v[194:195], v[188:189], -v[192:193]
	v_add_f64 v[180:181], v[180:181], v[192:193]
	v_fma_f64 v[188:189], v[190:191], s[0:1], v[204:205]
	v_fma_f64 v[192:193], v[190:191], s[2:3], v[204:205]
	v_add_f64 v[204:205], v[196:197], v[200:201]
	v_fma_f64 v[190:191], v[194:195], s[2:3], v[206:207]
	v_fma_f64 v[194:195], v[194:195], s[0:1], v[206:207]
	v_add_f64 v[206:207], v[198:199], v[202:203]
	s_waitcnt lgkmcnt(0)
	v_fma_f64 v[204:205], v[204:205], -0.5, v[184:185]
	v_add_f64 v[184:185], v[184:185], v[196:197]
	v_fma_f64 v[206:207], v[206:207], -0.5, v[186:187]
	v_add_f64 v[186:187], v[186:187], v[198:199]
	v_add_f64 v[198:199], v[198:199], -v[202:203]
	v_add_f64 v[184:185], v[184:185], v[200:201]
	v_add_f64 v[186:187], v[186:187], v[202:203]
	v_add_f64 v[202:203], v[196:197], -v[200:201]
	v_fma_f64 v[196:197], v[198:199], s[0:1], v[204:205]
	v_fma_f64 v[200:201], v[198:199], s[2:3], v[204:205]
	;; [unrolled: 1-line block ×4, first 2 shown]
	ds_read_b128 v[204:207], v96 offset:6048
	ds_read_b128 v[208:211], v96 offset:7056
	s_waitcnt lgkmcnt(0)
	; wave barrier
	s_waitcnt lgkmcnt(0)
	ds_write_b128 v7, v[11:14]
	ds_write_b128 v7, v[19:22] offset:128
	v_fma_f64 v[230:231], v[230:231], -0.5, v[206:207]
	v_add_f64 v[206:207], v[206:207], v[214:215]
	v_fma_f64 v[228:229], v[228:229], -0.5, v[204:205]
	v_add_f64 v[204:205], v[204:205], v[212:213]
	v_add_f64 v[214:215], v[214:215], -v[218:219]
	buffer_store_dword v7, off, s[36:39], 0 offset:996 ; 4-byte Folded Spill
	ds_write_b128 v7, v[23:26] offset:256
	v_lshrrev_b32_e32 v7, 3, v0
	v_mul_u32_u24_e32 v7, 24, v7
	v_add_f64 v[206:207], v[206:207], v[218:219]
	v_add_f64 v[218:219], v[212:213], -v[216:217]
	v_add_f64 v[204:205], v[204:205], v[216:217]
	v_fma_f64 v[212:213], v[214:215], s[0:1], v[228:229]
	v_fma_f64 v[216:217], v[214:215], s[2:3], v[228:229]
	v_or_b32_e32 v7, v7, v8
	v_lshlrev_b32_e32 v7, 4, v7
	v_add_f64 v[228:229], v[220:221], v[224:225]
	ds_write_b128 v7, v[15:18]
	ds_write_b128 v7, v[27:30] offset:128
	v_fma_f64 v[214:215], v[218:219], s[2:3], v[230:231]
	v_fma_f64 v[218:219], v[218:219], s[0:1], v[230:231]
	v_add_f64 v[230:231], v[222:223], v[226:227]
	buffer_store_dword v7, off, s[36:39], 0 offset:1000 ; 4-byte Folded Spill
	ds_write_b128 v7, v[31:34] offset:256
	v_lshrrev_b32_e32 v7, 3, v4
	v_mul_u32_u24_e32 v7, 24, v7
	v_or_b32_e32 v7, v7, v9
	v_lshlrev_b32_e32 v7, 4, v7
	ds_write_b128 v7, v[35:38]
	ds_write_b128 v7, v[43:46] offset:128
	v_fma_f64 v[230:231], v[230:231], -0.5, v[210:211]
	v_add_f64 v[210:211], v[210:211], v[222:223]
	buffer_store_dword v7, off, s[36:39], 0 offset:1004 ; 4-byte Folded Spill
	ds_write_b128 v7, v[47:50] offset:256
	v_lshrrev_b32_e32 v7, 3, v98
	v_mul_u32_u24_e32 v7, 24, v7
	v_or_b32_e32 v7, v7, v10
	v_lshlrev_b32_e32 v7, 4, v7
	v_fma_f64 v[228:229], v[228:229], -0.5, v[208:209]
	v_add_f64 v[208:209], v[208:209], v[220:221]
	v_add_f64 v[222:223], v[222:223], -v[226:227]
	v_add_f64 v[210:211], v[210:211], v[226:227]
	v_add_f64 v[226:227], v[220:221], -v[224:225]
	ds_write_b128 v7, v[39:42]
	ds_write_b128 v7, v[51:54] offset:128
	buffer_store_dword v7, off, s[36:39], 0 offset:1008 ; 4-byte Folded Spill
	ds_write_b128 v7, v[55:58] offset:256
	v_lshrrev_b32_e32 v7, 3, v6
	v_mul_u32_u24_e32 v7, 24, v7
	v_or_b32_e32 v7, v7, v59
	v_lshlrev_b32_e32 v7, 4, v7
	ds_write_b128 v7, v[180:183]
	ds_write_b128 v7, v[188:191] offset:128
	buffer_store_dword v7, off, s[36:39], 0 offset:1012 ; 4-byte Folded Spill
	ds_write_b128 v7, v[192:195] offset:256
	v_lshrrev_b32_e32 v7, 3, v5
	v_mul_u32_u24_e32 v7, 24, v7
	v_or_b32_e32 v7, v7, v64
	v_lshlrev_b32_e32 v7, 4, v7
	v_add_f64 v[208:209], v[208:209], v[224:225]
	v_fma_f64 v[220:221], v[222:223], s[0:1], v[228:229]
	v_fma_f64 v[224:225], v[222:223], s[2:3], v[228:229]
	v_fma_f64 v[222:223], v[226:227], s[2:3], v[230:231]
	v_fma_f64 v[226:227], v[226:227], s[0:1], v[230:231]
	ds_write_b128 v7, v[184:187]
	ds_write_b128 v7, v[196:199] offset:128
	buffer_store_dword v7, off, s[36:39], 0 offset:1016 ; 4-byte Folded Spill
	ds_write_b128 v7, v[200:203] offset:256
	v_lshrrev_b32_e32 v7, 3, v3
	v_mul_u32_u24_e32 v7, 24, v7
	v_or_b32_e32 v7, v7, v65
	v_lshlrev_b32_e32 v7, 4, v7
	ds_write_b128 v7, v[204:207]
	ds_write_b128 v7, v[212:215] offset:128
	buffer_store_dword v7, off, s[36:39], 0 offset:1020 ; 4-byte Folded Spill
	ds_write_b128 v7, v[216:219] offset:256
	v_lshrrev_b32_e32 v7, 3, v2
	v_mul_u32_u24_e32 v7, 24, v7
	v_or_b32_e32 v7, v7, v66
	v_lshlrev_b32_e32 v7, 4, v7
	ds_write_b128 v7, v[208:211]
	ds_write_b128 v7, v[220:223] offset:128
	buffer_store_dword v7, off, s[36:39], 0 offset:1024 ; 4-byte Folded Spill
	ds_write_b128 v7, v[224:227] offset:256
	v_mul_lo_u16_sdwa v7, v97, s6 dst_sel:DWORD dst_unused:UNUSED_PAD src0_sel:BYTE_0 src1_sel:DWORD
	v_lshrrev_b16_e32 v8, 12, v7
	v_mul_lo_u16_e32 v7, 24, v8
	v_sub_u16_e32 v7, v97, v7
	v_and_b32_e32 v9, 0xff, v7
	v_lshlrev_b32_e32 v7, 5, v9
	s_waitcnt lgkmcnt(0)
	; wave barrier
	s_waitcnt lgkmcnt(0)
	global_load_dwordx4 v[20:23], v7, s[14:15] offset:352
	ds_read_b128 v[10:13], v96 offset:8064
	ds_read_b128 v[14:17], v96 offset:9072
	v_mul_lo_u16_e32 v8, 0x48, v8
	v_and_b32_e32 v8, 0xf8, v8
	v_add_lshl_u32 v8, v8, v9, 4
	s_waitcnt vmcnt(0) lgkmcnt(1)
	v_mul_f64 v[18:19], v[12:13], v[22:23]
	v_fma_f64 v[30:31], v[10:11], v[20:21], -v[18:19]
	v_mul_f64 v[10:11], v[10:11], v[22:23]
	buffer_store_dword v20, off, s[36:39], 0 offset:1028 ; 4-byte Folded Spill
	s_nop 0
	buffer_store_dword v21, off, s[36:39], 0 offset:1032 ; 4-byte Folded Spill
	buffer_store_dword v22, off, s[36:39], 0 offset:1036 ; 4-byte Folded Spill
	;; [unrolled: 1-line block ×3, first 2 shown]
	global_load_dwordx4 v[24:27], v7, s[14:15] offset:368
	v_mul_lo_u16_sdwa v7, v0, s6 dst_sel:DWORD dst_unused:UNUSED_PAD src0_sel:BYTE_0 src1_sel:DWORD
	v_fma_f64 v[32:33], v[12:13], v[20:21], v[10:11]
	ds_read_b128 v[10:13], v96 offset:16128
	ds_read_b128 v[18:21], v96 offset:17136
	s_waitcnt vmcnt(0) lgkmcnt(1)
	v_mul_f64 v[22:23], v[12:13], v[26:27]
	v_fma_f64 v[34:35], v[10:11], v[24:25], -v[22:23]
	v_mul_f64 v[10:11], v[10:11], v[26:27]
	buffer_store_dword v24, off, s[36:39], 0 offset:1044 ; 4-byte Folded Spill
	s_nop 0
	buffer_store_dword v25, off, s[36:39], 0 offset:1048 ; 4-byte Folded Spill
	buffer_store_dword v26, off, s[36:39], 0 offset:1052 ; 4-byte Folded Spill
	;; [unrolled: 1-line block ×3, first 2 shown]
	v_fma_f64 v[36:37], v[12:13], v[24:25], v[10:11]
	v_lshrrev_b16_e32 v10, 12, v7
	v_mul_lo_u16_e32 v7, 24, v10
	v_sub_u16_e32 v7, v0, v7
	v_and_b32_e32 v11, 0xff, v7
	v_lshlrev_b32_e32 v7, 5, v11
	global_load_dwordx4 v[22:25], v7, s[14:15] offset:352
	s_waitcnt vmcnt(0)
	v_mul_f64 v[12:13], v[16:17], v[24:25]
	v_fma_f64 v[38:39], v[14:15], v[22:23], -v[12:13]
	v_mul_f64 v[12:13], v[14:15], v[24:25]
	buffer_store_dword v22, off, s[36:39], 0 offset:1060 ; 4-byte Folded Spill
	s_nop 0
	buffer_store_dword v23, off, s[36:39], 0 offset:1064 ; 4-byte Folded Spill
	buffer_store_dword v24, off, s[36:39], 0 offset:1068 ; 4-byte Folded Spill
	;; [unrolled: 1-line block ×3, first 2 shown]
	v_fma_f64 v[40:41], v[16:17], v[22:23], v[12:13]
	global_load_dwordx4 v[14:17], v7, s[14:15] offset:368
	v_mul_lo_u16_sdwa v7, v4, s6 dst_sel:DWORD dst_unused:UNUSED_PAD src0_sel:BYTE_0 src1_sel:DWORD
	s_waitcnt vmcnt(0) lgkmcnt(0)
	v_mul_f64 v[12:13], v[20:21], v[16:17]
	v_fma_f64 v[42:43], v[18:19], v[14:15], -v[12:13]
	v_mul_f64 v[12:13], v[18:19], v[16:17]
	buffer_store_dword v14, off, s[36:39], 0 offset:1076 ; 4-byte Folded Spill
	s_nop 0
	buffer_store_dword v15, off, s[36:39], 0 offset:1080 ; 4-byte Folded Spill
	buffer_store_dword v16, off, s[36:39], 0 offset:1084 ; 4-byte Folded Spill
	;; [unrolled: 1-line block ×3, first 2 shown]
	v_fma_f64 v[44:45], v[20:21], v[14:15], v[12:13]
	v_lshrrev_b16_e32 v12, 12, v7
	v_mul_lo_u16_e32 v7, 24, v12
	v_sub_u16_e32 v7, v4, v7
	v_and_b32_e32 v13, 0xff, v7
	v_lshlrev_b32_e32 v7, 5, v13
	global_load_dwordx4 v[24:27], v7, s[14:15] offset:352
	ds_read_b128 v[14:17], v96 offset:10080
	ds_read_b128 v[18:21], v96 offset:11088
	s_waitcnt vmcnt(0) lgkmcnt(1)
	v_mul_f64 v[22:23], v[16:17], v[26:27]
	v_fma_f64 v[50:51], v[14:15], v[24:25], -v[22:23]
	v_mul_f64 v[14:15], v[14:15], v[26:27]
	buffer_store_dword v24, off, s[36:39], 0 offset:1092 ; 4-byte Folded Spill
	s_nop 0
	buffer_store_dword v25, off, s[36:39], 0 offset:1096 ; 4-byte Folded Spill
	buffer_store_dword v26, off, s[36:39], 0 offset:1100 ; 4-byte Folded Spill
	;; [unrolled: 1-line block ×3, first 2 shown]
	global_load_dwordx4 v[46:49], v7, s[14:15] offset:368
	v_mul_lo_u16_sdwa v7, v98, s6 dst_sel:DWORD dst_unused:UNUSED_PAD src0_sel:BYTE_0 src1_sel:DWORD
	s_mov_b32 s6, 0xaaab
	v_fma_f64 v[52:53], v[16:17], v[24:25], v[14:15]
	ds_read_b128 v[14:17], v96 offset:18144
	ds_read_b128 v[22:25], v96 offset:19152
	s_waitcnt vmcnt(0) lgkmcnt(1)
	v_mul_f64 v[26:27], v[16:17], v[48:49]
	v_fma_f64 v[54:55], v[14:15], v[46:47], -v[26:27]
	v_mul_f64 v[14:15], v[14:15], v[48:49]
	buffer_store_dword v46, off, s[36:39], 0 offset:1108 ; 4-byte Folded Spill
	s_nop 0
	buffer_store_dword v47, off, s[36:39], 0 offset:1112 ; 4-byte Folded Spill
	buffer_store_dword v48, off, s[36:39], 0 offset:1116 ; 4-byte Folded Spill
	;; [unrolled: 1-line block ×3, first 2 shown]
	v_add_f64 v[186:187], v[50:51], v[54:55]
	v_fma_f64 v[56:57], v[16:17], v[46:47], v[14:15]
	v_lshrrev_b16_e32 v14, 12, v7
	v_mul_lo_u16_e32 v7, 24, v14
	v_sub_u16_e32 v7, v98, v7
	v_and_b32_e32 v15, 0xff, v7
	v_lshlrev_b32_e32 v7, 5, v15
	global_load_dwordx4 v[26:29], v7, s[14:15] offset:352
	v_add_f64 v[188:189], v[52:53], v[56:57]
	s_waitcnt vmcnt(0)
	v_mul_f64 v[16:17], v[20:21], v[28:29]
	v_fma_f64 v[58:59], v[18:19], v[26:27], -v[16:17]
	v_mul_f64 v[16:17], v[18:19], v[28:29]
	buffer_store_dword v26, off, s[36:39], 0 offset:1124 ; 4-byte Folded Spill
	s_nop 0
	buffer_store_dword v27, off, s[36:39], 0 offset:1128 ; 4-byte Folded Spill
	buffer_store_dword v28, off, s[36:39], 0 offset:1132 ; 4-byte Folded Spill
	;; [unrolled: 1-line block ×3, first 2 shown]
	v_fma_f64 v[180:181], v[20:21], v[26:27], v[16:17]
	global_load_dwordx4 v[18:21], v7, s[14:15] offset:368
	v_mul_u32_u24_sdwa v7, v6, s6 dst_sel:DWORD dst_unused:UNUSED_PAD src0_sel:WORD_0 src1_sel:DWORD
	s_waitcnt vmcnt(0) lgkmcnt(0)
	v_mul_f64 v[16:17], v[24:25], v[20:21]
	v_fma_f64 v[182:183], v[22:23], v[18:19], -v[16:17]
	v_mul_f64 v[16:17], v[22:23], v[20:21]
	buffer_store_dword v18, off, s[36:39], 0 offset:1140 ; 4-byte Folded Spill
	s_nop 0
	buffer_store_dword v19, off, s[36:39], 0 offset:1144 ; 4-byte Folded Spill
	buffer_store_dword v20, off, s[36:39], 0 offset:1148 ; 4-byte Folded Spill
	;; [unrolled: 1-line block ×3, first 2 shown]
	v_fma_f64 v[184:185], v[24:25], v[18:19], v[16:17]
	v_lshrrev_b32_e32 v16, 20, v7
	v_mul_lo_u16_e32 v7, 24, v16
	v_sub_u16_e32 v17, v6, v7
	v_lshlrev_b16_e32 v18, 5, v17
	v_mov_b32_e32 v7, s15
	v_add_co_u32_e32 v26, vcc, s14, v18
	v_addc_co_u32_e32 v27, vcc, 0, v7, vcc
	global_load_dwordx4 v[46:49], v[26:27], off offset:352
	ds_read_b128 v[18:21], v96 offset:12096
	ds_read_b128 v[22:25], v96 offset:13104
	v_add_f64 v[190:191], v[180:181], -v[184:185]
	s_waitcnt vmcnt(0) lgkmcnt(1)
	v_mul_f64 v[28:29], v[20:21], v[48:49]
	v_fma_f64 v[196:197], v[18:19], v[46:47], -v[28:29]
	v_mul_f64 v[18:19], v[18:19], v[48:49]
	buffer_store_dword v46, off, s[36:39], 0 offset:1156 ; 4-byte Folded Spill
	s_nop 0
	buffer_store_dword v47, off, s[36:39], 0 offset:1160 ; 4-byte Folded Spill
	buffer_store_dword v48, off, s[36:39], 0 offset:1164 ; 4-byte Folded Spill
	;; [unrolled: 1-line block ×3, first 2 shown]
	global_load_dwordx4 v[64:67], v[26:27], off offset:368
	v_fma_f64 v[198:199], v[20:21], v[46:47], v[18:19]
	ds_read_b128 v[18:21], v96 offset:20160
	ds_read_b128 v[26:29], v96 offset:21168
	s_waitcnt vmcnt(0) lgkmcnt(1)
	v_mul_f64 v[46:47], v[20:21], v[66:67]
	v_fma_f64 v[200:201], v[18:19], v[64:65], -v[46:47]
	v_mul_f64 v[18:19], v[18:19], v[66:67]
	buffer_store_dword v64, off, s[36:39], 0 offset:1172 ; 4-byte Folded Spill
	s_nop 0
	buffer_store_dword v65, off, s[36:39], 0 offset:1176 ; 4-byte Folded Spill
	buffer_store_dword v66, off, s[36:39], 0 offset:1180 ; 4-byte Folded Spill
	buffer_store_dword v67, off, s[36:39], 0 offset:1184 ; 4-byte Folded Spill
	v_fma_f64 v[202:203], v[20:21], v[64:65], v[18:19]
	v_mul_u32_u24_sdwa v18, v5, s6 dst_sel:DWORD dst_unused:UNUSED_PAD src0_sel:WORD_0 src1_sel:DWORD
	v_lshrrev_b32_e32 v64, 20, v18
	v_mul_lo_u16_e32 v18, 24, v64
	v_sub_u16_e32 v65, v5, v18
	v_lshlrev_b16_e32 v18, 5, v65
	v_add_co_u32_e32 v18, vcc, s14, v18
	v_addc_co_u32_e32 v19, vcc, 0, v7, vcc
	global_load_dwordx4 v[46:49], v[18:19], off offset:352
	v_add_f64 v[212:213], v[198:199], v[202:203]
	s_waitcnt vmcnt(0)
	v_mul_f64 v[20:21], v[24:25], v[48:49]
	v_fma_f64 v[204:205], v[22:23], v[46:47], -v[20:21]
	v_mul_f64 v[20:21], v[22:23], v[48:49]
	buffer_store_dword v46, off, s[36:39], 0 offset:1188 ; 4-byte Folded Spill
	s_nop 0
	buffer_store_dword v47, off, s[36:39], 0 offset:1192 ; 4-byte Folded Spill
	buffer_store_dword v48, off, s[36:39], 0 offset:1196 ; 4-byte Folded Spill
	;; [unrolled: 1-line block ×3, first 2 shown]
	v_fma_f64 v[206:207], v[24:25], v[46:47], v[20:21]
	global_load_dwordx4 v[20:23], v[18:19], off offset:368
	s_waitcnt vmcnt(0) lgkmcnt(0)
	v_mul_f64 v[18:19], v[28:29], v[22:23]
	v_fma_f64 v[208:209], v[26:27], v[20:21], -v[18:19]
	v_mul_f64 v[18:19], v[26:27], v[22:23]
	buffer_store_dword v20, off, s[36:39], 0 offset:1204 ; 4-byte Folded Spill
	s_nop 0
	buffer_store_dword v21, off, s[36:39], 0 offset:1208 ; 4-byte Folded Spill
	buffer_store_dword v22, off, s[36:39], 0 offset:1212 ; 4-byte Folded Spill
	;; [unrolled: 1-line block ×3, first 2 shown]
	v_fma_f64 v[210:211], v[28:29], v[20:21], v[18:19]
	v_mul_u32_u24_sdwa v18, v3, s6 dst_sel:DWORD dst_unused:UNUSED_PAD src0_sel:WORD_0 src1_sel:DWORD
	v_lshrrev_b32_e32 v66, 20, v18
	v_mul_lo_u16_e32 v18, 24, v66
	v_sub_u16_e32 v67, v3, v18
	v_lshlrev_b16_e32 v18, 5, v67
	v_add_co_u32_e32 v26, vcc, s14, v18
	v_addc_co_u32_e32 v27, vcc, 0, v7, vcc
	global_load_dwordx4 v[46:49], v[26:27], off offset:352
	ds_read_b128 v[18:21], v96 offset:14112
	ds_read_b128 v[22:25], v96 offset:15120
	s_waitcnt vmcnt(0) lgkmcnt(1)
	v_mul_f64 v[28:29], v[20:21], v[48:49]
	v_fma_f64 v[220:221], v[18:19], v[46:47], -v[28:29]
	v_mul_f64 v[18:19], v[18:19], v[48:49]
	buffer_store_dword v46, off, s[36:39], 0 offset:1220 ; 4-byte Folded Spill
	s_nop 0
	buffer_store_dword v47, off, s[36:39], 0 offset:1224 ; 4-byte Folded Spill
	buffer_store_dword v48, off, s[36:39], 0 offset:1228 ; 4-byte Folded Spill
	buffer_store_dword v49, off, s[36:39], 0 offset:1232 ; 4-byte Folded Spill
	global_load_dwordx4 v[68:71], v[26:27], off offset:368
	v_fma_f64 v[222:223], v[20:21], v[46:47], v[18:19]
	ds_read_b128 v[18:21], v96 offset:22176
	ds_read_b128 v[26:29], v96 offset:23184
	s_waitcnt vmcnt(0) lgkmcnt(1)
	v_mul_f64 v[46:47], v[20:21], v[70:71]
	v_fma_f64 v[224:225], v[18:19], v[68:69], -v[46:47]
	v_mul_f64 v[18:19], v[18:19], v[70:71]
	buffer_store_dword v68, off, s[36:39], 0 offset:1236 ; 4-byte Folded Spill
	s_nop 0
	buffer_store_dword v69, off, s[36:39], 0 offset:1240 ; 4-byte Folded Spill
	buffer_store_dword v70, off, s[36:39], 0 offset:1244 ; 4-byte Folded Spill
	;; [unrolled: 1-line block ×3, first 2 shown]
	v_fma_f64 v[226:227], v[20:21], v[68:69], v[18:19]
	v_mul_u32_u24_sdwa v18, v2, s6 dst_sel:DWORD dst_unused:UNUSED_PAD src0_sel:WORD_0 src1_sel:DWORD
	v_lshrrev_b32_e32 v238, 20, v18
	v_mul_lo_u16_e32 v18, 24, v238
	v_sub_u16_e32 v239, v2, v18
	v_lshlrev_b16_e32 v18, 5, v239
	v_add_co_u32_e32 v18, vcc, s14, v18
	v_addc_co_u32_e32 v19, vcc, 0, v7, vcc
	global_load_dwordx4 v[46:49], v[18:19], off offset:352
	v_add_f64 v[236:237], v[222:223], v[226:227]
	s_movk_i32 s6, 0x48
	s_waitcnt vmcnt(0)
	v_mul_f64 v[20:21], v[24:25], v[48:49]
	v_fma_f64 v[228:229], v[22:23], v[46:47], -v[20:21]
	v_mul_f64 v[20:21], v[22:23], v[48:49]
	buffer_store_dword v46, off, s[36:39], 0 offset:1252 ; 4-byte Folded Spill
	s_nop 0
	buffer_store_dword v47, off, s[36:39], 0 offset:1256 ; 4-byte Folded Spill
	buffer_store_dword v48, off, s[36:39], 0 offset:1260 ; 4-byte Folded Spill
	;; [unrolled: 1-line block ×3, first 2 shown]
	v_fma_f64 v[230:231], v[24:25], v[46:47], v[20:21]
	global_load_dwordx4 v[20:23], v[18:19], off offset:368
	s_waitcnt vmcnt(0) lgkmcnt(0)
	v_mul_f64 v[18:19], v[28:29], v[22:23]
	v_fma_f64 v[232:233], v[26:27], v[20:21], -v[18:19]
	v_mul_f64 v[18:19], v[26:27], v[22:23]
	buffer_store_dword v20, off, s[36:39], 0 offset:1268 ; 4-byte Folded Spill
	s_nop 0
	buffer_store_dword v21, off, s[36:39], 0 offset:1272 ; 4-byte Folded Spill
	buffer_store_dword v22, off, s[36:39], 0 offset:1276 ; 4-byte Folded Spill
	;; [unrolled: 1-line block ×3, first 2 shown]
	v_add_f64 v[26:27], v[30:31], v[34:35]
	v_fma_f64 v[234:235], v[28:29], v[20:21], v[18:19]
	ds_read_b128 v[18:21], v96
	ds_read_b128 v[22:25], v96 offset:1008
	s_waitcnt lgkmcnt(1)
	v_fma_f64 v[28:29], v[26:27], -0.5, v[18:19]
	v_add_f64 v[26:27], v[32:33], v[36:37]
	v_add_f64 v[18:19], v[18:19], v[30:31]
	v_fma_f64 v[46:47], v[26:27], -0.5, v[20:21]
	v_add_f64 v[20:21], v[20:21], v[32:33]
	v_add_f64 v[32:33], v[32:33], -v[36:37]
	v_add_f64 v[18:19], v[18:19], v[34:35]
	v_add_f64 v[34:35], v[30:31], -v[34:35]
	v_add_f64 v[20:21], v[20:21], v[36:37]
	v_fma_f64 v[26:27], v[32:33], s[0:1], v[28:29]
	v_fma_f64 v[30:31], v[32:33], s[2:3], v[28:29]
	;; [unrolled: 1-line block ×4, first 2 shown]
	v_add_f64 v[34:35], v[38:39], v[42:43]
	s_waitcnt lgkmcnt(0)
	v_fma_f64 v[36:37], v[34:35], -0.5, v[22:23]
	v_add_f64 v[34:35], v[40:41], v[44:45]
	v_add_f64 v[22:23], v[22:23], v[38:39]
	v_fma_f64 v[46:47], v[34:35], -0.5, v[24:25]
	v_add_f64 v[24:25], v[24:25], v[40:41]
	v_add_f64 v[40:41], v[40:41], -v[44:45]
	v_add_f64 v[22:23], v[22:23], v[42:43]
	v_add_f64 v[42:43], v[38:39], -v[42:43]
	v_add_f64 v[24:25], v[24:25], v[44:45]
	v_fma_f64 v[34:35], v[40:41], s[0:1], v[36:37]
	v_fma_f64 v[38:39], v[40:41], s[2:3], v[36:37]
	;; [unrolled: 1-line block ×4, first 2 shown]
	ds_read_b128 v[42:45], v96 offset:2016
	ds_read_b128 v[46:49], v96 offset:3024
	s_waitcnt lgkmcnt(1)
	v_fma_f64 v[188:189], v[188:189], -0.5, v[44:45]
	v_add_f64 v[44:45], v[44:45], v[52:53]
	v_fma_f64 v[186:187], v[186:187], -0.5, v[42:43]
	v_add_f64 v[42:43], v[42:43], v[50:51]
	v_add_f64 v[52:53], v[52:53], -v[56:57]
	v_add_f64 v[44:45], v[44:45], v[56:57]
	v_add_f64 v[56:57], v[50:51], -v[54:55]
	v_add_f64 v[42:43], v[42:43], v[54:55]
	v_fma_f64 v[50:51], v[52:53], s[0:1], v[186:187]
	v_fma_f64 v[54:55], v[52:53], s[2:3], v[186:187]
	v_add_f64 v[186:187], v[58:59], v[182:183]
	v_fma_f64 v[52:53], v[56:57], s[2:3], v[188:189]
	v_fma_f64 v[56:57], v[56:57], s[0:1], v[188:189]
	v_add_f64 v[188:189], v[180:181], v[184:185]
	s_waitcnt lgkmcnt(0)
	v_fma_f64 v[186:187], v[186:187], -0.5, v[46:47]
	v_add_f64 v[46:47], v[46:47], v[58:59]
	v_add_f64 v[58:59], v[58:59], -v[182:183]
	v_fma_f64 v[188:189], v[188:189], -0.5, v[48:49]
	v_add_f64 v[48:49], v[48:49], v[180:181]
	v_fma_f64 v[180:181], v[190:191], s[0:1], v[186:187]
	v_add_f64 v[46:47], v[46:47], v[182:183]
	v_fma_f64 v[182:183], v[58:59], s[2:3], v[188:189]
	;; [unrolled: 2-line block ×3, first 2 shown]
	v_fma_f64 v[186:187], v[58:59], s[0:1], v[188:189]
	ds_read_b128 v[188:191], v96 offset:4032
	ds_read_b128 v[192:195], v96 offset:5040
	v_add_f64 v[58:59], v[196:197], v[200:201]
	s_waitcnt lgkmcnt(1)
	v_fma_f64 v[212:213], v[212:213], -0.5, v[190:191]
	v_add_f64 v[190:191], v[190:191], v[198:199]
	v_add_f64 v[198:199], v[198:199], -v[202:203]
	v_fma_f64 v[58:59], v[58:59], -0.5, v[188:189]
	v_add_f64 v[188:189], v[188:189], v[196:197]
	v_add_f64 v[190:191], v[190:191], v[202:203]
	v_add_f64 v[202:203], v[196:197], -v[200:201]
	v_fma_f64 v[196:197], v[198:199], s[0:1], v[58:59]
	v_add_f64 v[188:189], v[188:189], v[200:201]
	v_fma_f64 v[200:201], v[198:199], s[2:3], v[58:59]
	v_add_f64 v[58:59], v[204:205], v[208:209]
	v_fma_f64 v[198:199], v[202:203], s[2:3], v[212:213]
	v_fma_f64 v[202:203], v[202:203], s[0:1], v[212:213]
	v_add_f64 v[212:213], v[206:207], v[210:211]
	s_waitcnt lgkmcnt(0)
	v_fma_f64 v[58:59], v[58:59], -0.5, v[192:193]
	v_add_f64 v[192:193], v[192:193], v[204:205]
	v_fma_f64 v[212:213], v[212:213], -0.5, v[194:195]
	v_add_f64 v[194:195], v[194:195], v[206:207]
	v_add_f64 v[206:207], v[206:207], -v[210:211]
	v_add_f64 v[192:193], v[192:193], v[208:209]
	v_add_f64 v[194:195], v[194:195], v[210:211]
	v_add_f64 v[210:211], v[204:205], -v[208:209]
	v_fma_f64 v[204:205], v[206:207], s[0:1], v[58:59]
	v_fma_f64 v[208:209], v[206:207], s[2:3], v[58:59]
	v_add_f64 v[58:59], v[220:221], v[224:225]
	v_fma_f64 v[206:207], v[210:211], s[2:3], v[212:213]
	v_fma_f64 v[210:211], v[210:211], s[0:1], v[212:213]
	ds_read_b128 v[212:215], v96 offset:6048
	ds_read_b128 v[216:219], v96 offset:7056
	s_waitcnt lgkmcnt(0)
	; wave barrier
	s_waitcnt lgkmcnt(0)
	ds_write_b128 v8, v[18:21]
	ds_write_b128 v8, v[26:29] offset:384
	v_fma_f64 v[236:237], v[236:237], -0.5, v[214:215]
	v_add_f64 v[214:215], v[214:215], v[222:223]
	v_fma_f64 v[58:59], v[58:59], -0.5, v[212:213]
	v_add_f64 v[212:213], v[212:213], v[220:221]
	v_add_f64 v[222:223], v[222:223], -v[226:227]
	buffer_store_dword v8, off, s[36:39], 0 offset:612 ; 4-byte Folded Spill
	ds_write_b128 v8, v[30:33] offset:768
	v_mul_u32_u24_e32 v8, 0x48, v10
	v_add_lshl_u32 v8, v8, v11, 4
	v_add_f64 v[214:215], v[214:215], v[226:227]
	v_add_f64 v[226:227], v[220:221], -v[224:225]
	v_add_f64 v[212:213], v[212:213], v[224:225]
	v_fma_f64 v[220:221], v[222:223], s[0:1], v[58:59]
	v_fma_f64 v[224:225], v[222:223], s[2:3], v[58:59]
	v_add_f64 v[58:59], v[228:229], v[232:233]
	ds_write_b128 v8, v[22:25]
	ds_write_b128 v8, v[34:37] offset:384
	buffer_store_dword v8, off, s[36:39], 0 offset:632 ; 4-byte Folded Spill
	ds_write_b128 v8, v[38:41] offset:768
	v_fma_f64 v[222:223], v[226:227], s[2:3], v[236:237]
	v_fma_f64 v[226:227], v[226:227], s[0:1], v[236:237]
	v_add_f64 v[236:237], v[230:231], v[234:235]
	v_mul_u32_u24_e32 v8, 0x48, v12
	v_fma_f64 v[58:59], v[58:59], -0.5, v[216:217]
	v_add_f64 v[216:217], v[216:217], v[228:229]
	v_add_lshl_u32 v8, v8, v13, 4
	ds_write_b128 v8, v[42:45]
	ds_write_b128 v8, v[50:53] offset:384
	buffer_store_dword v8, off, s[36:39], 0 offset:652 ; 4-byte Folded Spill
	ds_write_b128 v8, v[54:57] offset:768
	v_fma_f64 v[236:237], v[236:237], -0.5, v[218:219]
	v_add_f64 v[218:219], v[218:219], v[230:231]
	v_add_f64 v[230:231], v[230:231], -v[234:235]
	v_mul_u32_u24_e32 v8, 0x48, v14
	v_add_lshl_u32 v8, v8, v15, 4
	v_add_f64 v[216:217], v[216:217], v[232:233]
	ds_write_b128 v8, v[46:49]
	ds_write_b128 v8, v[180:183] offset:384
	buffer_store_dword v8, off, s[36:39], 0 offset:672 ; 4-byte Folded Spill
	ds_write_b128 v8, v[184:187] offset:768
	v_add_f64 v[218:219], v[218:219], v[234:235]
	v_add_f64 v[234:235], v[228:229], -v[232:233]
	v_fma_f64 v[228:229], v[230:231], s[0:1], v[58:59]
	v_fma_f64 v[232:233], v[230:231], s[2:3], v[58:59]
	v_mad_legacy_u16 v8, v16, s6, v17
	v_lshlrev_b32_e32 v8, 4, v8
	ds_write_b128 v8, v[188:191]
	ds_write_b128 v8, v[196:199] offset:384
	buffer_store_dword v8, off, s[36:39], 0 offset:676 ; 4-byte Folded Spill
	ds_write_b128 v8, v[200:203] offset:768
	v_fma_f64 v[230:231], v[234:235], s[2:3], v[236:237]
	v_fma_f64 v[234:235], v[234:235], s[0:1], v[236:237]
	v_mad_legacy_u16 v8, v64, s6, v65
	v_lshlrev_b32_e32 v8, 4, v8
	ds_write_b128 v8, v[192:195]
	ds_write_b128 v8, v[204:207] offset:384
	buffer_store_dword v8, off, s[36:39], 0 offset:712 ; 4-byte Folded Spill
	ds_write_b128 v8, v[208:211] offset:768
	v_mad_legacy_u16 v8, v66, s6, v67
	v_lshlrev_b32_e32 v8, 4, v8
	ds_write_b128 v8, v[212:215]
	ds_write_b128 v8, v[220:223] offset:384
	buffer_store_dword v8, off, s[36:39], 0 offset:732 ; 4-byte Folded Spill
	ds_write_b128 v8, v[224:227] offset:768
	;; [unrolled: 6-line block ×3, first 2 shown]
	s_waitcnt lgkmcnt(0)
	; wave barrier
	s_waitcnt lgkmcnt(0)
	global_load_dwordx4 v[18:21], v99, s[14:15] offset:1120
	ds_read_b128 v[8:11], v96 offset:8064
	ds_read_b128 v[12:15], v96 offset:9072
	v_mov_b32_e32 v22, 57
	s_waitcnt vmcnt(0) lgkmcnt(1)
	v_mul_f64 v[16:17], v[10:11], v[20:21]
	v_fma_f64 v[23:24], v[8:9], v[18:19], -v[16:17]
	v_mul_f64 v[8:9], v[8:9], v[20:21]
	buffer_store_dword v18, off, s[36:39], 0 offset:680 ; 4-byte Folded Spill
	s_nop 0
	buffer_store_dword v19, off, s[36:39], 0 offset:684 ; 4-byte Folded Spill
	buffer_store_dword v20, off, s[36:39], 0 offset:688 ; 4-byte Folded Spill
	;; [unrolled: 1-line block ×3, first 2 shown]
	global_load_dwordx4 v[29:32], v99, s[14:15] offset:1136
	v_fma_f64 v[25:26], v[10:11], v[18:19], v[8:9]
	ds_read_b128 v[8:11], v96 offset:16128
	ds_read_b128 v[16:19], v96 offset:17136
	s_waitcnt vmcnt(0) lgkmcnt(1)
	v_mul_f64 v[20:21], v[10:11], v[31:32]
	v_fma_f64 v[27:28], v[8:9], v[29:30], -v[20:21]
	v_mul_f64 v[8:9], v[8:9], v[31:32]
	buffer_store_dword v29, off, s[36:39], 0 offset:740 ; 4-byte Folded Spill
	s_nop 0
	buffer_store_dword v30, off, s[36:39], 0 offset:744 ; 4-byte Folded Spill
	buffer_store_dword v31, off, s[36:39], 0 offset:748 ; 4-byte Folded Spill
	;; [unrolled: 1-line block ×3, first 2 shown]
	v_fma_f64 v[29:30], v[10:11], v[29:30], v[8:9]
	v_add_co_u32_e32 v8, vcc, -9, v97
	v_addc_co_u32_e64 v9, s[6:7], 0, -1, vcc
	v_cmp_gt_u16_e32 vcc, 9, v97
	v_cndmask_b32_e32 v1, v9, v1, vcc
	v_cndmask_b32_e32 v0, v8, v0, vcc
	v_lshlrev_b64 v[8:9], 5, v[0:1]
	v_mul_lo_u16_sdwa v1, v4, v22 dst_sel:DWORD dst_unused:UNUSED_PAD src0_sel:BYTE_0 src1_sel:DWORD
	v_add_co_u32_e32 v8, vcc, s14, v8
	v_addc_co_u32_e32 v9, vcc, v7, v9, vcc
	global_load_dwordx4 v[33:36], v[8:9], off offset:1120
	v_lshrrev_b16_e32 v1, 12, v1
	s_mov_b32 s6, 0xe38f
	s_waitcnt vmcnt(0)
	v_mul_f64 v[10:11], v[14:15], v[35:36]
	v_fma_f64 v[31:32], v[12:13], v[33:34], -v[10:11]
	v_mul_f64 v[10:11], v[12:13], v[35:36]
	buffer_store_dword v33, off, s[36:39], 0 offset:756 ; 4-byte Folded Spill
	s_nop 0
	buffer_store_dword v34, off, s[36:39], 0 offset:760 ; 4-byte Folded Spill
	buffer_store_dword v35, off, s[36:39], 0 offset:764 ; 4-byte Folded Spill
	;; [unrolled: 1-line block ×3, first 2 shown]
	v_fma_f64 v[33:34], v[14:15], v[33:34], v[10:11]
	global_load_dwordx4 v[10:13], v[8:9], off offset:1136
	s_waitcnt vmcnt(0) lgkmcnt(0)
	v_mul_f64 v[8:9], v[18:19], v[12:13]
	v_fma_f64 v[35:36], v[16:17], v[10:11], -v[8:9]
	v_mul_f64 v[8:9], v[16:17], v[12:13]
	buffer_store_dword v10, off, s[36:39], 0 offset:788 ; 4-byte Folded Spill
	s_nop 0
	buffer_store_dword v11, off, s[36:39], 0 offset:792 ; 4-byte Folded Spill
	buffer_store_dword v12, off, s[36:39], 0 offset:796 ; 4-byte Folded Spill
	buffer_store_dword v13, off, s[36:39], 0 offset:800 ; 4-byte Folded Spill
	v_fma_f64 v[37:38], v[18:19], v[10:11], v[8:9]
	v_mul_lo_u16_e32 v8, 0x48, v1
	v_sub_u16_e32 v4, v4, v8
	v_and_b32_e32 v4, 0xff, v4
	v_lshlrev_b32_e32 v18, 5, v4
	global_load_dwordx4 v[39:42], v18, s[14:15] offset:1120
	ds_read_b128 v[8:11], v96 offset:10080
	ds_read_b128 v[12:15], v96 offset:11088
	s_waitcnt vmcnt(0) lgkmcnt(1)
	v_mul_f64 v[16:17], v[10:11], v[41:42]
	v_fma_f64 v[43:44], v[8:9], v[39:40], -v[16:17]
	v_mul_f64 v[8:9], v[8:9], v[41:42]
	buffer_store_dword v39, off, s[36:39], 0 offset:804 ; 4-byte Folded Spill
	s_nop 0
	buffer_store_dword v40, off, s[36:39], 0 offset:808 ; 4-byte Folded Spill
	buffer_store_dword v41, off, s[36:39], 0 offset:812 ; 4-byte Folded Spill
	;; [unrolled: 1-line block ×3, first 2 shown]
	v_fma_f64 v[45:46], v[10:11], v[39:40], v[8:9]
	global_load_dwordx4 v[39:42], v18, s[14:15] offset:1136
	ds_read_b128 v[8:11], v96 offset:18144
	ds_read_b128 v[16:19], v96 offset:19152
	s_waitcnt vmcnt(0) lgkmcnt(1)
	v_mul_f64 v[20:21], v[10:11], v[41:42]
	v_fma_f64 v[47:48], v[8:9], v[39:40], -v[20:21]
	v_mul_f64 v[8:9], v[8:9], v[41:42]
	buffer_store_dword v39, off, s[36:39], 0 offset:820 ; 4-byte Folded Spill
	s_nop 0
	buffer_store_dword v40, off, s[36:39], 0 offset:824 ; 4-byte Folded Spill
	buffer_store_dword v41, off, s[36:39], 0 offset:828 ; 4-byte Folded Spill
	;; [unrolled: 1-line block ×3, first 2 shown]
	v_add_f64 v[180:181], v[43:44], v[47:48]
	v_fma_f64 v[49:50], v[10:11], v[39:40], v[8:9]
	v_mul_lo_u16_sdwa v8, v98, v22 dst_sel:DWORD dst_unused:UNUSED_PAD src0_sel:BYTE_0 src1_sel:DWORD
	v_lshrrev_b16_e32 v8, 12, v8
	v_mul_lo_u16_e32 v9, 0x48, v8
	v_sub_u16_e32 v9, v98, v9
	v_and_b32_e32 v9, 0xff, v9
	v_lshlrev_b32_e32 v20, 5, v9
	global_load_dwordx4 v[39:42], v20, s[14:15] offset:1120
	v_add_f64 v[182:183], v[45:46], v[49:50]
	s_waitcnt vmcnt(0)
	v_mul_f64 v[10:11], v[14:15], v[41:42]
	v_fma_f64 v[51:52], v[12:13], v[39:40], -v[10:11]
	v_mul_f64 v[10:11], v[12:13], v[41:42]
	buffer_store_dword v39, off, s[36:39], 0 offset:836 ; 4-byte Folded Spill
	s_nop 0
	buffer_store_dword v40, off, s[36:39], 0 offset:840 ; 4-byte Folded Spill
	buffer_store_dword v41, off, s[36:39], 0 offset:844 ; 4-byte Folded Spill
	;; [unrolled: 1-line block ×3, first 2 shown]
	v_fma_f64 v[53:54], v[14:15], v[39:40], v[10:11]
	global_load_dwordx4 v[12:15], v20, s[14:15] offset:1136
	s_waitcnt vmcnt(0) lgkmcnt(0)
	v_mul_f64 v[10:11], v[18:19], v[14:15]
	v_fma_f64 v[55:56], v[16:17], v[12:13], -v[10:11]
	v_mul_f64 v[10:11], v[16:17], v[14:15]
	buffer_store_dword v12, off, s[36:39], 0 offset:852 ; 4-byte Folded Spill
	s_nop 0
	buffer_store_dword v13, off, s[36:39], 0 offset:856 ; 4-byte Folded Spill
	buffer_store_dword v14, off, s[36:39], 0 offset:860 ; 4-byte Folded Spill
	;; [unrolled: 1-line block ×3, first 2 shown]
	v_fma_f64 v[57:58], v[18:19], v[12:13], v[10:11]
	v_mul_u32_u24_sdwa v10, v6, s6 dst_sel:DWORD dst_unused:UNUSED_PAD src0_sel:WORD_0 src1_sel:DWORD
	v_lshrrev_b32_e32 v10, 22, v10
	v_mul_lo_u16_e32 v11, 0x48, v10
	v_sub_u16_e32 v6, v6, v11
	v_lshlrev_b16_e32 v11, 5, v6
	v_add_co_u32_e32 v19, vcc, s14, v11
	v_addc_co_u32_e32 v20, vcc, 0, v7, vcc
	global_load_dwordx4 v[39:42], v[19:20], off offset:1120
	ds_read_b128 v[11:14], v96 offset:12096
	ds_read_b128 v[15:18], v96 offset:13104
	s_waitcnt vmcnt(0) lgkmcnt(1)
	v_mul_f64 v[21:22], v[13:14], v[41:42]
	v_fma_f64 v[192:193], v[11:12], v[39:40], -v[21:22]
	v_mul_f64 v[11:12], v[11:12], v[41:42]
	buffer_store_dword v39, off, s[36:39], 0 offset:868 ; 4-byte Folded Spill
	s_nop 0
	buffer_store_dword v40, off, s[36:39], 0 offset:872 ; 4-byte Folded Spill
	buffer_store_dword v41, off, s[36:39], 0 offset:876 ; 4-byte Folded Spill
	;; [unrolled: 1-line block ×3, first 2 shown]
	global_load_dwordx4 v[64:67], v[19:20], off offset:1136
	v_fma_f64 v[188:189], v[13:14], v[39:40], v[11:12]
	ds_read_b128 v[11:14], v96 offset:20160
	ds_read_b128 v[19:22], v96 offset:21168
	s_waitcnt vmcnt(0) lgkmcnt(1)
	v_mul_f64 v[39:40], v[13:14], v[66:67]
	v_fma_f64 v[194:195], v[11:12], v[64:65], -v[39:40]
	v_mul_f64 v[11:12], v[11:12], v[66:67]
	buffer_store_dword v64, off, s[36:39], 0 offset:884 ; 4-byte Folded Spill
	s_nop 0
	buffer_store_dword v65, off, s[36:39], 0 offset:888 ; 4-byte Folded Spill
	buffer_store_dword v66, off, s[36:39], 0 offset:892 ; 4-byte Folded Spill
	buffer_store_dword v67, off, s[36:39], 0 offset:896 ; 4-byte Folded Spill
	v_add_f64 v[196:197], v[192:193], v[194:195]
	v_fma_f64 v[190:191], v[13:14], v[64:65], v[11:12]
	v_mul_u32_u24_sdwa v11, v5, s6 dst_sel:DWORD dst_unused:UNUSED_PAD src0_sel:WORD_0 src1_sel:DWORD
	v_lshrrev_b32_e32 v59, 22, v11
	v_mul_lo_u16_e32 v11, 0x48, v59
	v_sub_u16_e32 v5, v5, v11
	v_lshlrev_b16_e32 v11, 5, v5
	v_add_co_u32_e32 v11, vcc, s14, v11
	v_addc_co_u32_e32 v12, vcc, 0, v7, vcc
	global_load_dwordx4 v[39:42], v[11:12], off offset:1120
	v_add_f64 v[198:199], v[188:189], v[190:191]
	v_add_f64 v[212:213], v[188:189], -v[190:191]
	s_waitcnt vmcnt(0)
	v_mul_f64 v[13:14], v[17:18], v[41:42]
	v_fma_f64 v[200:201], v[15:16], v[39:40], -v[13:14]
	v_mul_f64 v[13:14], v[15:16], v[41:42]
	buffer_store_dword v39, off, s[36:39], 0 offset:900 ; 4-byte Folded Spill
	s_nop 0
	buffer_store_dword v40, off, s[36:39], 0 offset:904 ; 4-byte Folded Spill
	buffer_store_dword v41, off, s[36:39], 0 offset:908 ; 4-byte Folded Spill
	;; [unrolled: 1-line block ×3, first 2 shown]
	v_fma_f64 v[202:203], v[17:18], v[39:40], v[13:14]
	global_load_dwordx4 v[13:16], v[11:12], off offset:1136
	s_waitcnt vmcnt(0) lgkmcnt(0)
	v_mul_f64 v[11:12], v[21:22], v[15:16]
	v_fma_f64 v[204:205], v[19:20], v[13:14], -v[11:12]
	v_mul_f64 v[11:12], v[19:20], v[15:16]
	buffer_store_dword v13, off, s[36:39], 0 offset:916 ; 4-byte Folded Spill
	s_nop 0
	buffer_store_dword v14, off, s[36:39], 0 offset:920 ; 4-byte Folded Spill
	buffer_store_dword v15, off, s[36:39], 0 offset:924 ; 4-byte Folded Spill
	buffer_store_dword v16, off, s[36:39], 0 offset:928 ; 4-byte Folded Spill
	v_fma_f64 v[206:207], v[21:22], v[13:14], v[11:12]
	v_mul_u32_u24_sdwa v11, v3, s6 dst_sel:DWORD dst_unused:UNUSED_PAD src0_sel:WORD_0 src1_sel:DWORD
	v_lshrrev_b32_e32 v64, 22, v11
	v_mul_lo_u16_e32 v11, 0x48, v64
	v_sub_u16_e32 v65, v3, v11
	v_lshlrev_b16_e32 v3, 5, v65
	v_add_co_u32_e32 v19, vcc, s14, v3
	v_addc_co_u32_e32 v20, vcc, 0, v7, vcc
	global_load_dwordx4 v[39:42], v[19:20], off offset:1120
	ds_read_b128 v[11:14], v96 offset:14112
	ds_read_b128 v[15:18], v96 offset:15120
	v_mul_u32_u24_sdwa v3, v2, s6 dst_sel:DWORD dst_unused:UNUSED_PAD src0_sel:WORD_0 src1_sel:DWORD
	v_lshrrev_b32_e32 v3, 22, v3
	v_mul_lo_u16_e32 v3, 0x48, v3
	s_waitcnt vmcnt(0) lgkmcnt(1)
	v_mul_f64 v[21:22], v[13:14], v[41:42]
	v_fma_f64 v[208:209], v[11:12], v[39:40], -v[21:22]
	v_mul_f64 v[11:12], v[11:12], v[41:42]
	buffer_store_dword v39, off, s[36:39], 0 offset:932 ; 4-byte Folded Spill
	s_nop 0
	buffer_store_dword v40, off, s[36:39], 0 offset:936 ; 4-byte Folded Spill
	buffer_store_dword v41, off, s[36:39], 0 offset:940 ; 4-byte Folded Spill
	buffer_store_dword v42, off, s[36:39], 0 offset:944 ; 4-byte Folded Spill
	global_load_dwordx4 v[66:69], v[19:20], off offset:1136
	v_fma_f64 v[210:211], v[13:14], v[39:40], v[11:12]
	ds_read_b128 v[11:14], v96 offset:22176
	ds_read_b128 v[19:22], v96 offset:23184
	s_waitcnt vmcnt(0) lgkmcnt(1)
	v_mul_f64 v[39:40], v[13:14], v[68:69]
	v_fma_f64 v[220:221], v[11:12], v[66:67], -v[39:40]
	v_mul_f64 v[11:12], v[11:12], v[68:69]
	buffer_store_dword v66, off, s[36:39], 0 offset:948 ; 4-byte Folded Spill
	s_nop 0
	buffer_store_dword v67, off, s[36:39], 0 offset:952 ; 4-byte Folded Spill
	buffer_store_dword v68, off, s[36:39], 0 offset:956 ; 4-byte Folded Spill
	;; [unrolled: 1-line block ×3, first 2 shown]
	v_add_f64 v[218:219], v[208:209], v[220:221]
	v_fma_f64 v[216:217], v[13:14], v[66:67], v[11:12]
	v_sub_u16_e32 v66, v2, v3
	v_lshlrev_b16_e32 v2, 5, v66
	v_add_co_u32_e32 v2, vcc, s14, v2
	v_addc_co_u32_e32 v3, vcc, 0, v7, vcc
	global_load_dwordx4 v[39:42], v[2:3], off offset:1120
	v_cmp_lt_u16_e32 vcc, 8, v97
	s_waitcnt vmcnt(0)
	v_mul_f64 v[11:12], v[17:18], v[41:42]
	v_fma_f64 v[228:229], v[15:16], v[39:40], -v[11:12]
	v_mul_f64 v[11:12], v[15:16], v[41:42]
	buffer_store_dword v39, off, s[36:39], 0 offset:964 ; 4-byte Folded Spill
	s_nop 0
	buffer_store_dword v40, off, s[36:39], 0 offset:968 ; 4-byte Folded Spill
	buffer_store_dword v41, off, s[36:39], 0 offset:972 ; 4-byte Folded Spill
	;; [unrolled: 1-line block ×3, first 2 shown]
	global_load_dwordx4 v[13:16], v[2:3], off offset:1136
	v_fma_f64 v[230:231], v[17:18], v[39:40], v[11:12]
	s_waitcnt vmcnt(0) lgkmcnt(0)
	v_mul_f64 v[2:3], v[21:22], v[15:16]
	v_mul_f64 v[11:12], v[19:20], v[15:16]
	v_fma_f64 v[2:3], v[19:20], v[13:14], -v[2:3]
	buffer_store_dword v13, off, s[36:39], 0 offset:980 ; 4-byte Folded Spill
	s_nop 0
	buffer_store_dword v14, off, s[36:39], 0 offset:984 ; 4-byte Folded Spill
	buffer_store_dword v15, off, s[36:39], 0 offset:988 ; 4-byte Folded Spill
	;; [unrolled: 1-line block ×3, first 2 shown]
	v_add_f64 v[19:20], v[23:24], v[27:28]
	v_fma_f64 v[232:233], v[21:22], v[13:14], v[11:12]
	ds_read_b128 v[11:14], v96
	ds_read_b128 v[15:18], v96 offset:1008
	s_waitcnt lgkmcnt(1)
	v_fma_f64 v[21:22], v[19:20], -0.5, v[11:12]
	v_add_f64 v[19:20], v[25:26], v[29:30]
	v_add_f64 v[11:12], v[11:12], v[23:24]
	v_fma_f64 v[39:40], v[19:20], -0.5, v[13:14]
	v_add_f64 v[13:14], v[13:14], v[25:26]
	v_add_f64 v[25:26], v[25:26], -v[29:30]
	v_add_f64 v[11:12], v[11:12], v[27:28]
	v_add_f64 v[27:28], v[23:24], -v[27:28]
	v_add_f64 v[13:14], v[13:14], v[29:30]
	v_fma_f64 v[19:20], v[25:26], s[0:1], v[21:22]
	v_fma_f64 v[23:24], v[25:26], s[2:3], v[21:22]
	;; [unrolled: 1-line block ×4, first 2 shown]
	v_add_f64 v[27:28], v[31:32], v[35:36]
	s_waitcnt lgkmcnt(0)
	v_fma_f64 v[29:30], v[27:28], -0.5, v[15:16]
	v_add_f64 v[27:28], v[33:34], v[37:38]
	v_add_f64 v[15:16], v[15:16], v[31:32]
	v_fma_f64 v[39:40], v[27:28], -0.5, v[17:18]
	v_add_f64 v[17:18], v[17:18], v[33:34]
	v_add_f64 v[33:34], v[33:34], -v[37:38]
	v_add_f64 v[15:16], v[15:16], v[35:36]
	v_add_f64 v[35:36], v[31:32], -v[35:36]
	v_add_f64 v[17:18], v[17:18], v[37:38]
	v_fma_f64 v[27:28], v[33:34], s[0:1], v[29:30]
	v_fma_f64 v[31:32], v[33:34], s[2:3], v[29:30]
	;; [unrolled: 1-line block ×4, first 2 shown]
	ds_read_b128 v[35:38], v96 offset:2016
	ds_read_b128 v[39:42], v96 offset:3024
	s_waitcnt lgkmcnt(1)
	v_fma_f64 v[182:183], v[182:183], -0.5, v[37:38]
	v_add_f64 v[37:38], v[37:38], v[45:46]
	v_fma_f64 v[180:181], v[180:181], -0.5, v[35:36]
	v_add_f64 v[35:36], v[35:36], v[43:44]
	v_add_f64 v[45:46], v[45:46], -v[49:50]
	v_add_f64 v[37:38], v[37:38], v[49:50]
	v_add_f64 v[49:50], v[43:44], -v[47:48]
	v_add_f64 v[35:36], v[35:36], v[47:48]
	v_fma_f64 v[43:44], v[45:46], s[0:1], v[180:181]
	v_fma_f64 v[47:48], v[45:46], s[2:3], v[180:181]
	v_add_f64 v[180:181], v[51:52], v[55:56]
	v_fma_f64 v[45:46], v[49:50], s[2:3], v[182:183]
	v_fma_f64 v[49:50], v[49:50], s[0:1], v[182:183]
	v_add_f64 v[182:183], v[53:54], v[57:58]
	s_waitcnt lgkmcnt(0)
	v_fma_f64 v[180:181], v[180:181], -0.5, v[39:40]
	v_add_f64 v[39:40], v[39:40], v[51:52]
	v_fma_f64 v[182:183], v[182:183], -0.5, v[41:42]
	v_add_f64 v[41:42], v[41:42], v[53:54]
	v_add_f64 v[53:54], v[53:54], -v[57:58]
	v_add_f64 v[39:40], v[39:40], v[55:56]
	v_add_f64 v[41:42], v[41:42], v[57:58]
	v_add_f64 v[57:58], v[51:52], -v[55:56]
	v_fma_f64 v[51:52], v[53:54], s[0:1], v[180:181]
	v_fma_f64 v[55:56], v[53:54], s[2:3], v[180:181]
	;; [unrolled: 1-line block ×4, first 2 shown]
	ds_read_b128 v[180:183], v96 offset:4032
	ds_read_b128 v[184:187], v96 offset:5040
	s_waitcnt lgkmcnt(1)
	v_fma_f64 v[196:197], v[196:197], -0.5, v[180:181]
	v_add_f64 v[180:181], v[180:181], v[192:193]
	v_fma_f64 v[198:199], v[198:199], -0.5, v[182:183]
	v_add_f64 v[182:183], v[182:183], v[188:189]
	v_add_f64 v[188:189], v[180:181], v[194:195]
	v_add_f64 v[180:181], v[192:193], -v[194:195]
	v_add_f64 v[190:191], v[182:183], v[190:191]
	v_add_f64 v[182:183], v[202:203], v[206:207]
	v_fma_f64 v[192:193], v[212:213], s[0:1], v[196:197]
	v_fma_f64 v[196:197], v[212:213], s[2:3], v[196:197]
	;; [unrolled: 1-line block ×4, first 2 shown]
	v_add_f64 v[180:181], v[200:201], v[204:205]
	s_waitcnt lgkmcnt(0)
	v_fma_f64 v[182:183], v[182:183], -0.5, v[186:187]
	v_add_f64 v[186:187], v[186:187], v[202:203]
	v_add_f64 v[202:203], v[202:203], -v[206:207]
	v_fma_f64 v[180:181], v[180:181], -0.5, v[184:185]
	v_add_f64 v[184:185], v[184:185], v[200:201]
	v_add_f64 v[186:187], v[186:187], v[206:207]
	v_fma_f64 v[212:213], v[202:203], s[2:3], v[180:181]
	v_add_f64 v[184:185], v[184:185], v[204:205]
	v_add_f64 v[204:205], v[200:201], -v[204:205]
	v_fma_f64 v[200:201], v[202:203], s[0:1], v[180:181]
	v_fma_f64 v[202:203], v[204:205], s[2:3], v[182:183]
	;; [unrolled: 1-line block ×3, first 2 shown]
	ds_read_b128 v[180:183], v96 offset:6048
	ds_read_b128 v[204:207], v96 offset:7056
	s_waitcnt lgkmcnt(0)
	; wave barrier
	s_waitcnt lgkmcnt(0)
	ds_write_b128 v96, v[11:14]
	ds_write_b128 v96, v[19:22] offset:1152
	ds_write_b128 v96, v[23:26] offset:2304
	v_fma_f64 v[222:223], v[218:219], -0.5, v[180:181]
	v_add_f64 v[218:219], v[210:211], v[216:217]
	v_add_f64 v[180:181], v[180:181], v[208:209]
	v_fma_f64 v[226:227], v[218:219], -0.5, v[182:183]
	v_add_f64 v[182:183], v[182:183], v[210:211]
	v_add_f64 v[210:211], v[210:211], -v[216:217]
	v_add_f64 v[218:219], v[182:183], v[216:217]
	v_add_f64 v[216:217], v[180:181], v[220:221]
	v_add_f64 v[180:181], v[208:209], -v[220:221]
	v_fma_f64 v[220:221], v[210:211], s[0:1], v[222:223]
	v_fma_f64 v[224:225], v[210:211], s[2:3], v[222:223]
	;; [unrolled: 1-line block ×4, first 2 shown]
	v_add_f64 v[180:181], v[228:229], v[2:3]
	v_fma_f64 v[208:209], v[180:181], -0.5, v[204:205]
	v_add_f64 v[180:181], v[230:231], v[232:233]
	v_add_f64 v[204:205], v[204:205], v[228:229]
	v_fma_f64 v[210:211], v[180:181], -0.5, v[206:207]
	v_add_f64 v[180:181], v[206:207], v[230:231]
	v_add_f64 v[206:207], v[230:231], -v[232:233]
	v_add_f64 v[182:183], v[180:181], v[232:233]
	v_add_f64 v[180:181], v[204:205], v[2:3]
	v_add_f64 v[2:3], v[228:229], -v[2:3]
	v_fma_f64 v[204:205], v[206:207], s[0:1], v[208:209]
	v_fma_f64 v[208:209], v[206:207], s[2:3], v[208:209]
	;; [unrolled: 1-line block ×4, first 2 shown]
	v_mov_b32_e32 v2, 0xd8
	v_cndmask_b32_e32 v2, 0, v2, vcc
	v_add_lshl_u32 v0, v0, v2, 4
	ds_write_b128 v0, v[15:18]
	ds_write_b128 v0, v[27:30] offset:1152
	buffer_store_dword v0, off, s[36:39], 0 offset:392 ; 4-byte Folded Spill
	ds_write_b128 v0, v[31:34] offset:2304
	v_mul_u32_u24_e32 v0, 0xd8, v1
	v_add_lshl_u32 v0, v0, v4, 4
	ds_write_b128 v0, v[35:38]
	ds_write_b128 v0, v[43:46] offset:1152
	buffer_store_dword v0, off, s[36:39], 0 offset:396 ; 4-byte Folded Spill
	ds_write_b128 v0, v[47:50] offset:2304
	v_mul_u32_u24_e32 v0, 0xd8, v8
	v_add_lshl_u32 v0, v0, v9, 4
	s_movk_i32 s0, 0xd8
	ds_write_b128 v0, v[39:42]
	ds_write_b128 v0, v[51:54] offset:1152
	buffer_store_dword v0, off, s[36:39], 0 offset:400 ; 4-byte Folded Spill
	ds_write_b128 v0, v[55:58] offset:2304
	v_mad_legacy_u16 v0, v10, s0, v6
	v_lshlrev_b32_e32 v0, 4, v0
	ds_write_b128 v0, v[188:191]
	ds_write_b128 v0, v[192:195] offset:1152
	buffer_store_dword v0, off, s[36:39], 0 offset:420 ; 4-byte Folded Spill
	ds_write_b128 v0, v[196:199] offset:2304
	v_mad_legacy_u16 v0, v59, s0, v5
	v_lshlrev_b32_e32 v0, 4, v0
	;; [unrolled: 6-line block ×3, first 2 shown]
	ds_write_b128 v0, v[216:219]
	ds_write_b128 v0, v[220:223] offset:1152
	buffer_store_dword v0, off, s[36:39], 0 offset:428 ; 4-byte Folded Spill
	ds_write_b128 v0, v[224:227] offset:2304
	v_lshlrev_b32_e32 v0, 4, v66
	ds_write_b128 v0, v[180:183] offset:20736
	ds_write_b128 v0, v[204:207] offset:21888
	buffer_store_dword v0, off, s[36:39], 0 offset:432 ; 4-byte Folded Spill
	ds_write_b128 v0, v[208:211] offset:23040
	s_waitcnt lgkmcnt(0)
	; wave barrier
	s_waitcnt lgkmcnt(0)
	ds_read_b128 v[192:195], v96
	ds_read_b128 v[188:191], v96 offset:1008
	ds_read_b128 v[20:23], v96 offset:6912
	;; [unrolled: 1-line block ×20, first 2 shown]
	s_load_dwordx2 s[2:3], s[4:5], 0x38
	v_cmp_gt_u16_e64 s[0:1], 27, v97
                                        ; implicit-def: $vgpr212_vgpr213
                                        ; implicit-def: $vgpr216_vgpr217
                                        ; implicit-def: $vgpr196_vgpr197
                                        ; implicit-def: $vgpr200_vgpr201
	s_and_saveexec_b64 s[4:5], s[0:1]
	s_cbranch_execz .LBB0_3
; %bb.2:
	ds_read_b128 v[180:183], v96 offset:3024
	ds_read_b128 v[204:207], v96 offset:6480
	;; [unrolled: 1-line block ×7, first 2 shown]
.LBB0_3:
	s_or_b64 exec, exec, s[4:5]
	v_mov_b32_e32 v37, s15
	s_movk_i32 s4, 0x60
	v_mov_b32_e32 v36, s14
	v_mad_u64_u32 v[64:65], s[4:5], v97, s4, v[36:37]
	s_movk_i32 s4, 0x17a0
	global_load_dwordx4 v[50:53], v[64:65], off offset:3472
	global_load_dwordx4 v[46:49], v[64:65], off offset:3456
	;; [unrolled: 1-line block ×4, first 2 shown]
	s_mov_b32 s6, 0x37e14327
	s_mov_b32 s16, 0xe976ee23
	;; [unrolled: 1-line block ×16, first 2 shown]
	s_waitcnt vmcnt(0) lgkmcnt(0)
	v_mul_f64 v[36:37], v[34:35], v[40:41]
	v_fma_f64 v[36:37], v[32:33], v[38:39], -v[36:37]
	v_mul_f64 v[32:33], v[32:33], v[40:41]
	buffer_store_dword v38, off, s[36:39], 0 offset:500 ; 4-byte Folded Spill
	s_nop 0
	buffer_store_dword v39, off, s[36:39], 0 offset:504 ; 4-byte Folded Spill
	buffer_store_dword v40, off, s[36:39], 0 offset:508 ; 4-byte Folded Spill
	buffer_store_dword v41, off, s[36:39], 0 offset:512 ; 4-byte Folded Spill
	v_fma_f64 v[42:43], v[34:35], v[38:39], v[32:33]
	v_mul_f64 v[32:33], v[22:23], v[56:57]
	v_fma_f64 v[38:39], v[20:21], v[54:55], -v[32:33]
	v_mul_f64 v[20:21], v[20:21], v[56:57]
	buffer_store_dword v54, off, s[36:39], 0 offset:484 ; 4-byte Folded Spill
	s_nop 0
	buffer_store_dword v55, off, s[36:39], 0 offset:488 ; 4-byte Folded Spill
	buffer_store_dword v56, off, s[36:39], 0 offset:492 ; 4-byte Folded Spill
	buffer_store_dword v57, off, s[36:39], 0 offset:496 ; 4-byte Folded Spill
	v_fma_f64 v[44:45], v[22:23], v[54:55], v[20:21]
	;; [unrolled: 9-line block ×4, first 2 shown]
	global_load_dwordx4 v[18:21], v[64:65], off offset:3504
	global_load_dwordx4 v[28:31], v[64:65], off offset:3488
	s_waitcnt vmcnt(0)
	v_mul_f64 v[16:17], v[26:27], v[30:31]
	v_fma_f64 v[52:53], v[24:25], v[28:29], -v[16:17]
	v_mul_f64 v[16:17], v[24:25], v[30:31]
	buffer_store_dword v28, off, s[36:39], 0 offset:468 ; 4-byte Folded Spill
	s_nop 0
	buffer_store_dword v29, off, s[36:39], 0 offset:472 ; 4-byte Folded Spill
	buffer_store_dword v30, off, s[36:39], 0 offset:476 ; 4-byte Folded Spill
	;; [unrolled: 1-line block ×3, first 2 shown]
	v_fma_f64 v[54:55], v[26:27], v[28:29], v[16:17]
	v_mul_f64 v[16:17], v[14:15], v[20:21]
	v_fma_f64 v[56:57], v[12:13], v[18:19], -v[16:17]
	v_mul_f64 v[12:13], v[12:13], v[20:21]
	buffer_store_dword v18, off, s[36:39], 0 offset:436 ; 4-byte Folded Spill
	s_nop 0
	buffer_store_dword v19, off, s[36:39], 0 offset:440 ; 4-byte Folded Spill
	buffer_store_dword v20, off, s[36:39], 0 offset:444 ; 4-byte Folded Spill
	;; [unrolled: 1-line block ×3, first 2 shown]
	v_fma_f64 v[58:59], v[14:15], v[18:19], v[12:13]
	v_add_co_u32_e32 v14, vcc, s4, v64
	v_addc_co_u32_e32 v15, vcc, 0, v65, vcc
	global_load_dwordx4 v[28:31], v[14:15], off offset:3472
	global_load_dwordx4 v[22:25], v[14:15], off offset:3456
	;; [unrolled: 1-line block ×4, first 2 shown]
	s_movk_i32 s4, 0x2f40
	s_waitcnt vmcnt(0)
	v_mul_f64 v[12:13], v[10:11], v[18:19]
	v_fma_f64 v[12:13], v[8:9], v[16:17], -v[12:13]
	v_mul_f64 v[8:9], v[8:9], v[18:19]
	buffer_store_dword v16, off, s[36:39], 0 offset:580 ; 4-byte Folded Spill
	s_nop 0
	buffer_store_dword v17, off, s[36:39], 0 offset:584 ; 4-byte Folded Spill
	buffer_store_dword v18, off, s[36:39], 0 offset:588 ; 4-byte Folded Spill
	;; [unrolled: 1-line block ×3, first 2 shown]
	v_fma_f64 v[18:19], v[10:11], v[16:17], v[8:9]
	v_mul_f64 v[8:9], v[2:3], v[34:35]
	v_fma_f64 v[8:9], v[0:1], v[32:33], -v[8:9]
	v_mul_f64 v[0:1], v[0:1], v[34:35]
	buffer_store_dword v32, off, s[36:39], 0 offset:564 ; 4-byte Folded Spill
	s_nop 0
	buffer_store_dword v33, off, s[36:39], 0 offset:568 ; 4-byte Folded Spill
	buffer_store_dword v34, off, s[36:39], 0 offset:572 ; 4-byte Folded Spill
	;; [unrolled: 1-line block ×3, first 2 shown]
	v_fma_f64 v[20:21], v[2:3], v[32:33], v[0:1]
	v_mul_f64 v[0:1], v[6:7], v[24:25]
	v_add_co_u32_e32 v32, vcc, s4, v64
	v_addc_co_u32_e32 v33, vcc, 0, v65, vcc
	s_mov_b32 s4, 0x36b3c0b5
	s_mov_b32 s5, 0x3fac98ee
	v_fma_f64 v[10:11], v[4:5], v[22:23], -v[0:1]
	v_mul_f64 v[0:1], v[4:5], v[24:25]
	buffer_store_dword v22, off, s[36:39], 0 offset:532 ; 4-byte Folded Spill
	s_nop 0
	buffer_store_dword v23, off, s[36:39], 0 offset:536 ; 4-byte Folded Spill
	buffer_store_dword v24, off, s[36:39], 0 offset:540 ; 4-byte Folded Spill
	;; [unrolled: 1-line block ×3, first 2 shown]
	v_fma_f64 v[22:23], v[6:7], v[22:23], v[0:1]
	v_mul_f64 v[0:1], v[254:255], v[30:31]
	v_fma_f64 v[26:27], v[252:253], v[28:29], -v[0:1]
	v_mul_f64 v[0:1], v[252:253], v[30:31]
	buffer_store_dword v28, off, s[36:39], 0 offset:516 ; 4-byte Folded Spill
	s_nop 0
	buffer_store_dword v29, off, s[36:39], 0 offset:520 ; 4-byte Folded Spill
	buffer_store_dword v30, off, s[36:39], 0 offset:524 ; 4-byte Folded Spill
	;; [unrolled: 1-line block ×3, first 2 shown]
	global_load_dwordx4 v[2:5], v[14:15], off offset:3504
	s_nop 0
	global_load_dwordx4 v[14:17], v[14:15], off offset:3488
	v_fma_f64 v[30:31], v[254:255], v[28:29], v[0:1]
	s_waitcnt vmcnt(0)
	v_mul_f64 v[0:1], v[250:251], v[16:17]
	v_fma_f64 v[252:253], v[248:249], v[14:15], -v[0:1]
	v_mul_f64 v[0:1], v[248:249], v[16:17]
	buffer_store_dword v14, off, s[36:39], 0 offset:636 ; 4-byte Folded Spill
	s_nop 0
	buffer_store_dword v15, off, s[36:39], 0 offset:640 ; 4-byte Folded Spill
	buffer_store_dword v16, off, s[36:39], 0 offset:644 ; 4-byte Folded Spill
	;; [unrolled: 1-line block ×3, first 2 shown]
	v_fma_f64 v[248:249], v[250:251], v[14:15], v[0:1]
	v_mul_f64 v[0:1], v[246:247], v[4:5]
	v_fma_f64 v[250:251], v[244:245], v[2:3], -v[0:1]
	v_mul_f64 v[0:1], v[244:245], v[4:5]
	buffer_store_dword v2, off, s[36:39], 0 offset:548 ; 4-byte Folded Spill
	s_nop 0
	buffer_store_dword v3, off, s[36:39], 0 offset:552 ; 4-byte Folded Spill
	buffer_store_dword v4, off, s[36:39], 0 offset:556 ; 4-byte Folded Spill
	;; [unrolled: 1-line block ×3, first 2 shown]
	global_load_dwordx4 v[64:67], v[32:33], off offset:3472
	global_load_dwordx4 v[68:71], v[32:33], off offset:3456
	;; [unrolled: 1-line block ×3, first 2 shown]
	s_nop 0
	global_load_dwordx4 v[4:7], v[32:33], off offset:3424
	v_fma_f64 v[244:245], v[246:247], v[2:3], v[0:1]
	s_waitcnt vmcnt(3)
	v_mul_f64 v[24:25], v[230:231], v[66:67]
	v_mul_f64 v[28:29], v[228:229], v[66:67]
	s_waitcnt vmcnt(0)
	v_mul_f64 v[0:1], v[242:243], v[6:7]
	v_mul_f64 v[2:3], v[240:241], v[6:7]
	v_fma_f64 v[24:25], v[228:229], v[64:65], -v[24:25]
	v_fma_f64 v[0:1], v[240:241], v[4:5], -v[0:1]
	buffer_store_dword v4, off, s[36:39], 0 offset:772 ; 4-byte Folded Spill
	s_nop 0
	buffer_store_dword v5, off, s[36:39], 0 offset:776 ; 4-byte Folded Spill
	buffer_store_dword v6, off, s[36:39], 0 offset:780 ; 4-byte Folded Spill
	;; [unrolled: 1-line block ×3, first 2 shown]
	v_fma_f64 v[6:7], v[242:243], v[4:5], v[2:3]
	v_mul_f64 v[2:3], v[238:239], v[16:17]
	v_mul_f64 v[4:5], v[236:237], v[16:17]
	v_fma_f64 v[2:3], v[236:237], v[14:15], -v[2:3]
	buffer_store_dword v14, off, s[36:39], 0 offset:696 ; 4-byte Folded Spill
	s_nop 0
	buffer_store_dword v15, off, s[36:39], 0 offset:700 ; 4-byte Folded Spill
	buffer_store_dword v16, off, s[36:39], 0 offset:704 ; 4-byte Folded Spill
	;; [unrolled: 1-line block ×3, first 2 shown]
	v_mul_f64 v[16:17], v[232:233], v[70:71]
	v_fma_f64 v[14:15], v[238:239], v[14:15], v[4:5]
	v_mul_f64 v[4:5], v[234:235], v[70:71]
	v_fma_f64 v[4:5], v[232:233], v[68:69], -v[4:5]
	buffer_store_dword v68, off, s[36:39], 0 offset:616 ; 4-byte Folded Spill
	s_nop 0
	buffer_store_dword v69, off, s[36:39], 0 offset:620 ; 4-byte Folded Spill
	buffer_store_dword v70, off, s[36:39], 0 offset:624 ; 4-byte Folded Spill
	;; [unrolled: 1-line block ×4, first 2 shown]
	s_nop 0
	buffer_store_dword v65, off, s[36:39], 0 offset:600 ; 4-byte Folded Spill
	buffer_store_dword v66, off, s[36:39], 0 offset:604 ; 4-byte Folded Spill
	;; [unrolled: 1-line block ×3, first 2 shown]
	v_fma_f64 v[16:17], v[234:235], v[68:69], v[16:17]
	v_fma_f64 v[28:29], v[230:231], v[64:65], v[28:29]
	global_load_dwordx4 v[66:69], v[32:33], off offset:3504
	global_load_dwordx4 v[228:231], v[32:33], off offset:3488
	s_waitcnt vmcnt(1)
	v_mul_f64 v[64:65], v[222:223], v[68:69]
	s_waitcnt vmcnt(0)
	v_mul_f64 v[32:33], v[226:227], v[230:231]
	v_mul_f64 v[34:35], v[224:225], v[230:231]
	v_fma_f64 v[32:33], v[224:225], v[228:229], -v[32:33]
	buffer_store_dword v228, off, s[36:39], 0 offset:716 ; 4-byte Folded Spill
	s_nop 0
	buffer_store_dword v229, off, s[36:39], 0 offset:720 ; 4-byte Folded Spill
	buffer_store_dword v230, off, s[36:39], 0 offset:724 ; 4-byte Folded Spill
	buffer_store_dword v231, off, s[36:39], 0 offset:728 ; 4-byte Folded Spill
	v_fma_f64 v[224:225], v[220:221], v[66:67], -v[64:65]
	v_mul_f64 v[64:65], v[220:221], v[68:69]
	buffer_store_dword v66, off, s[36:39], 0 offset:656 ; 4-byte Folded Spill
	s_nop 0
	buffer_store_dword v67, off, s[36:39], 0 offset:660 ; 4-byte Folded Spill
	buffer_store_dword v68, off, s[36:39], 0 offset:664 ; 4-byte Folded Spill
	;; [unrolled: 1-line block ×3, first 2 shown]
	v_fma_f64 v[34:35], v[226:227], v[228:229], v[34:35]
	v_fma_f64 v[220:221], v[222:223], v[66:67], v[64:65]
	v_subrev_u32_e32 v64, 27, v97
	v_cndmask_b32_e64 v64, v64, v98, s[0:1]
	v_mul_hi_i32_i24_e32 v65, 0x60, v64
	v_mul_i32_i24_e32 v64, 0x60, v64
	v_add_co_u32_e32 v64, vcc, s14, v64
	v_mov_b32_e32 v66, s15
	v_addc_co_u32_e32 v65, vcc, v66, v65, vcc
	global_load_dwordx4 v[228:231], v[64:65], off offset:3472
	global_load_dwordx4 v[232:235], v[64:65], off offset:3456
	;; [unrolled: 1-line block ×4, first 2 shown]
	s_mov_b32 s14, 0x429ad128
	s_mov_b32 s15, 0x3febfeb5
	s_waitcnt vmcnt(0)
	v_mul_f64 v[66:67], v[206:207], v[242:243]
	v_fma_f64 v[222:223], v[204:205], v[240:241], -v[66:67]
	v_mul_f64 v[66:67], v[204:205], v[242:243]
	buffer_store_dword v240, off, s[36:39], 0 offset:1568 ; 4-byte Folded Spill
	s_nop 0
	buffer_store_dword v241, off, s[36:39], 0 offset:1572 ; 4-byte Folded Spill
	buffer_store_dword v242, off, s[36:39], 0 offset:1576 ; 4-byte Folded Spill
	buffer_store_dword v243, off, s[36:39], 0 offset:1580 ; 4-byte Folded Spill
	v_fma_f64 v[226:227], v[206:207], v[240:241], v[66:67]
	v_mul_f64 v[66:67], v[210:211], v[238:239]
	v_fma_f64 v[204:205], v[208:209], v[236:237], -v[66:67]
	v_mul_f64 v[66:67], v[208:209], v[238:239]
	buffer_store_dword v236, off, s[36:39], 0 offset:1552 ; 4-byte Folded Spill
	s_nop 0
	buffer_store_dword v237, off, s[36:39], 0 offset:1556 ; 4-byte Folded Spill
	buffer_store_dword v238, off, s[36:39], 0 offset:1560 ; 4-byte Folded Spill
	buffer_store_dword v239, off, s[36:39], 0 offset:1564 ; 4-byte Folded Spill
	v_fma_f64 v[208:209], v[210:211], v[236:237], v[66:67]
	;; [unrolled: 9-line block ×4, first 2 shown]
	global_load_dwordx4 v[228:231], v[64:65], off offset:3504
	global_load_dwordx4 v[232:235], v[64:65], off offset:3488
	s_waitcnt vmcnt(1)
	v_mul_f64 v[66:67], v[202:203], v[230:231]
	s_waitcnt vmcnt(0)
	v_mul_f64 v[64:65], v[198:199], v[234:235]
	v_fma_f64 v[66:67], v[200:201], v[228:229], -v[66:67]
	v_fma_f64 v[216:217], v[196:197], v[232:233], -v[64:65]
	v_mul_f64 v[64:65], v[196:197], v[234:235]
	buffer_store_dword v232, off, s[36:39], 0 offset:1600 ; 4-byte Folded Spill
	s_nop 0
	buffer_store_dword v233, off, s[36:39], 0 offset:1604 ; 4-byte Folded Spill
	buffer_store_dword v234, off, s[36:39], 0 offset:1608 ; 4-byte Folded Spill
	;; [unrolled: 1-line block ×3, first 2 shown]
	v_mul_f64 v[196:197], v[200:201], v[230:231]
	buffer_store_dword v228, off, s[36:39], 0 offset:1584 ; 4-byte Folded Spill
	s_nop 0
	buffer_store_dword v229, off, s[36:39], 0 offset:1588 ; 4-byte Folded Spill
	buffer_store_dword v230, off, s[36:39], 0 offset:1592 ; 4-byte Folded Spill
	;; [unrolled: 1-line block ×3, first 2 shown]
	v_fma_f64 v[64:65], v[198:199], v[232:233], v[64:65]
	v_add_f64 v[198:199], v[42:43], v[58:59]
	v_fma_f64 v[254:255], v[202:203], v[228:229], v[196:197]
	v_add_f64 v[196:197], v[36:37], v[56:57]
	v_add_f64 v[36:37], v[36:37], -v[56:57]
	v_add_f64 v[42:43], v[42:43], -v[58:59]
	v_add_f64 v[56:57], v[38:39], v[52:53]
	v_add_f64 v[58:59], v[44:45], v[54:55]
	v_add_f64 v[38:39], v[38:39], -v[52:53]
	v_add_f64 v[44:45], v[44:45], -v[54:55]
	v_add_f64 v[52:53], v[40:41], v[48:49]
	;; [unrolled: 4-line block ×3, first 2 shown]
	v_add_f64 v[50:51], v[58:59], v[198:199]
	v_add_f64 v[200:201], v[56:57], -v[196:197]
	v_add_f64 v[202:203], v[58:59], -v[198:199]
	;; [unrolled: 1-line block ×6, first 2 shown]
	v_add_f64 v[218:219], v[40:41], v[38:39]
	v_add_f64 v[228:229], v[46:47], v[44:45]
	v_add_f64 v[230:231], v[40:41], -v[38:39]
	v_add_f64 v[232:233], v[46:47], -v[44:45]
	v_add_f64 v[48:49], v[52:53], v[48:49]
	v_add_f64 v[50:51], v[54:55], v[50:51]
	v_add_f64 v[40:41], v[36:37], -v[40:41]
	v_add_f64 v[46:47], v[42:43], -v[46:47]
	;; [unrolled: 1-line block ×4, first 2 shown]
	v_add_f64 v[36:37], v[218:219], v[36:37]
	v_add_f64 v[42:43], v[228:229], v[42:43]
	;; [unrolled: 1-line block ×4, first 2 shown]
	v_mul_f64 v[52:53], v[196:197], s[6:7]
	v_mul_f64 v[54:55], v[198:199], s[6:7]
	;; [unrolled: 1-line block ×8, first 2 shown]
	v_fma_f64 v[48:49], v[48:49], s[20:21], v[192:193]
	v_fma_f64 v[50:51], v[50:51], s[20:21], v[194:195]
	;; [unrolled: 1-line block ×4, first 2 shown]
	v_fma_f64 v[196:197], v[200:201], s[22:23], -v[196:197]
	v_fma_f64 v[198:199], v[202:203], s[22:23], -v[198:199]
	;; [unrolled: 1-line block ×4, first 2 shown]
	v_fma_f64 v[200:201], v[40:41], s[26:27], v[218:219]
	v_fma_f64 v[202:203], v[46:47], s[26:27], v[228:229]
	v_fma_f64 v[38:39], v[38:39], s[14:15], -v[218:219]
	v_fma_f64 v[44:45], v[44:45], s[14:15], -v[228:229]
	;; [unrolled: 1-line block ×4, first 2 shown]
	v_add_f64 v[56:57], v[56:57], v[48:49]
	v_add_f64 v[58:59], v[58:59], v[50:51]
	v_add_f64 v[196:197], v[196:197], v[48:49]
	v_add_f64 v[198:199], v[198:199], v[50:51]
	v_add_f64 v[52:53], v[52:53], v[48:49]
	v_add_f64 v[54:55], v[54:55], v[50:51]
	v_fma_f64 v[200:201], v[36:37], s[18:19], v[200:201]
	v_fma_f64 v[202:203], v[42:43], s[18:19], v[202:203]
	;; [unrolled: 1-line block ×6, first 2 shown]
	v_add_f64 v[38:39], v[58:59], -v[200:201]
	v_add_f64 v[36:37], v[202:203], v[56:57]
	v_add_f64 v[46:47], v[50:51], v[198:199]
	v_add_f64 v[44:45], v[196:197], -v[48:49]
	v_add_f64 v[48:49], v[48:49], v[196:197]
	v_add_f64 v[50:51], v[198:199], -v[50:51]
	v_add_f64 v[56:57], v[56:57], -v[202:203]
	v_add_f64 v[58:59], v[200:201], v[58:59]
	v_add_f64 v[196:197], v[12:13], v[250:251]
	;; [unrolled: 1-line block ×6, first 2 shown]
	v_add_f64 v[42:43], v[54:55], -v[218:219]
	v_add_f64 v[52:53], v[52:53], -v[228:229]
	v_add_f64 v[54:55], v[218:219], v[54:55]
	v_add_f64 v[12:13], v[12:13], -v[250:251]
	v_add_f64 v[18:19], v[18:19], -v[244:245]
	;; [unrolled: 1-line block ×4, first 2 shown]
	v_add_f64 v[218:219], v[10:11], v[26:27]
	v_add_f64 v[228:229], v[22:23], v[30:31]
	v_add_f64 v[10:11], v[26:27], -v[10:11]
	v_add_f64 v[22:23], v[30:31], -v[22:23]
	v_add_f64 v[26:27], v[200:201], v[196:197]
	v_add_f64 v[30:31], v[202:203], v[198:199]
	v_add_f64 v[230:231], v[200:201], -v[196:197]
	v_add_f64 v[232:233], v[202:203], -v[198:199]
	;; [unrolled: 1-line block ×6, first 2 shown]
	v_add_f64 v[234:235], v[10:11], v[8:9]
	v_add_f64 v[236:237], v[22:23], v[20:21]
	v_add_f64 v[238:239], v[10:11], -v[8:9]
	v_add_f64 v[240:241], v[22:23], -v[20:21]
	;; [unrolled: 1-line block ×4, first 2 shown]
	v_add_f64 v[26:27], v[218:219], v[26:27]
	v_add_f64 v[30:31], v[228:229], v[30:31]
	v_add_f64 v[10:11], v[12:13], -v[10:11]
	v_add_f64 v[242:243], v[18:19], -v[22:23]
	v_add_f64 v[12:13], v[234:235], v[12:13]
	v_add_f64 v[18:19], v[236:237], v[18:19]
	v_mul_f64 v[218:219], v[238:239], s[16:17]
	v_mul_f64 v[228:229], v[240:241], s[16:17]
	v_add_f64 v[20:21], v[188:189], v[26:27]
	v_add_f64 v[22:23], v[190:191], v[30:31]
	v_mul_f64 v[188:189], v[196:197], s[6:7]
	v_mul_f64 v[190:191], v[198:199], s[6:7]
	;; [unrolled: 1-line block ×6, first 2 shown]
	v_fma_f64 v[26:27], v[26:27], s[20:21], v[20:21]
	v_fma_f64 v[30:31], v[30:31], s[20:21], v[22:23]
	;; [unrolled: 1-line block ×4, first 2 shown]
	v_fma_f64 v[196:197], v[230:231], s[22:23], -v[196:197]
	v_fma_f64 v[198:199], v[232:233], s[22:23], -v[198:199]
	v_fma_f64 v[188:189], v[230:231], s[24:25], -v[188:189]
	v_fma_f64 v[190:191], v[232:233], s[24:25], -v[190:191]
	v_fma_f64 v[230:231], v[10:11], s[26:27], v[218:219]
	v_fma_f64 v[232:233], v[242:243], s[26:27], v[228:229]
	v_fma_f64 v[8:9], v[8:9], s[14:15], -v[218:219]
	v_fma_f64 v[218:219], v[244:245], s[14:15], -v[228:229]
	;; [unrolled: 1-line block ×4, first 2 shown]
	v_add_f64 v[236:237], v[200:201], v[26:27]
	v_add_f64 v[238:239], v[202:203], v[30:31]
	;; [unrolled: 1-line block ×6, first 2 shown]
	v_fma_f64 v[242:243], v[12:13], s[18:19], v[230:231]
	v_fma_f64 v[8:9], v[12:13], s[18:19], v[8:9]
	;; [unrolled: 1-line block ×6, first 2 shown]
	v_add_f64 v[18:19], v[14:15], v[34:35]
	v_add_f64 v[14:15], v[14:15], -v[34:35]
	v_add_f64 v[190:191], v[238:239], -v[242:243]
	v_add_f64 v[202:203], v[8:9], v[240:241]
	v_add_f64 v[200:201], v[234:235], -v[218:219]
	v_add_f64 v[198:199], v[30:31], -v[10:11]
	v_add_f64 v[196:197], v[12:13], v[26:27]
	v_add_f64 v[228:229], v[218:219], v[234:235]
	v_add_f64 v[230:231], v[240:241], -v[8:9]
	v_add_f64 v[232:233], v[26:27], -v[12:13]
	v_add_f64 v[234:235], v[10:11], v[30:31]
	v_add_f64 v[8:9], v[0:1], v[224:225]
	;; [unrolled: 1-line block ×4, first 2 shown]
	v_add_f64 v[0:1], v[0:1], -v[224:225]
	v_add_f64 v[6:7], v[6:7], -v[220:221]
	;; [unrolled: 1-line block ×3, first 2 shown]
	v_add_f64 v[26:27], v[4:5], v[24:25]
	v_add_f64 v[30:31], v[16:17], v[28:29]
	v_add_f64 v[4:5], v[24:25], -v[4:5]
	v_add_f64 v[16:17], v[28:29], -v[16:17]
	v_add_f64 v[24:25], v[12:13], v[8:9]
	v_add_f64 v[28:29], v[18:19], v[10:11]
	;; [unrolled: 1-line block ×3, first 2 shown]
	v_add_f64 v[32:33], v[12:13], -v[8:9]
	v_add_f64 v[34:35], v[18:19], -v[10:11]
	v_add_f64 v[8:9], v[8:9], -v[26:27]
	v_add_f64 v[10:11], v[10:11], -v[30:31]
	v_add_f64 v[12:13], v[26:27], -v[12:13]
	v_add_f64 v[18:19], v[30:31], -v[18:19]
	v_add_f64 v[218:219], v[4:5], v[2:3]
	v_add_f64 v[220:221], v[16:17], v[14:15]
	v_add_f64 v[224:225], v[4:5], -v[2:3]
	v_add_f64 v[240:241], v[16:17], -v[14:15]
	;; [unrolled: 1-line block ×4, first 2 shown]
	v_add_f64 v[242:243], v[26:27], v[24:25]
	v_add_f64 v[28:29], v[30:31], v[28:29]
	v_add_f64 v[4:5], v[0:1], -v[4:5]
	v_add_f64 v[16:17], v[6:7], -v[16:17]
	v_add_f64 v[0:1], v[218:219], v[0:1]
	v_add_f64 v[6:7], v[220:221], v[6:7]
	v_mul_f64 v[8:9], v[8:9], s[6:7]
	v_mul_f64 v[10:11], v[10:11], s[6:7]
	v_add_f64 v[24:25], v[184:185], v[242:243]
	v_add_f64 v[26:27], v[186:187], v[28:29]
	v_mul_f64 v[30:31], v[12:13], s[4:5]
	v_mul_f64 v[184:185], v[18:19], s[4:5]
	;; [unrolled: 1-line block ×6, first 2 shown]
	v_fma_f64 v[240:241], v[242:243], s[20:21], v[24:25]
	v_fma_f64 v[28:29], v[28:29], s[20:21], v[26:27]
	v_fma_f64 v[12:13], v[12:13], s[4:5], v[8:9]
	v_fma_f64 v[18:19], v[18:19], s[4:5], v[10:11]
	v_fma_f64 v[30:31], v[32:33], s[22:23], -v[30:31]
	v_fma_f64 v[184:185], v[34:35], s[22:23], -v[184:185]
	;; [unrolled: 1-line block ×4, first 2 shown]
	v_fma_f64 v[32:33], v[4:5], s[26:27], v[186:187]
	v_fma_f64 v[34:35], v[16:17], s[26:27], v[218:219]
	v_fma_f64 v[2:3], v[2:3], s[14:15], -v[186:187]
	v_fma_f64 v[4:5], v[4:5], s[28:29], -v[220:221]
	;; [unrolled: 1-line block ×4, first 2 shown]
	v_add_f64 v[220:221], v[184:185], v[28:29]
	v_add_f64 v[8:9], v[8:9], v[240:241]
	;; [unrolled: 1-line block ×3, first 2 shown]
	v_fma_f64 v[224:225], v[0:1], s[18:19], v[32:33]
	v_fma_f64 v[2:3], v[0:1], s[18:19], v[2:3]
	;; [unrolled: 1-line block ×4, first 2 shown]
	v_add_f64 v[188:189], v[244:245], v[236:237]
	v_add_f64 v[236:237], v[236:237], -v[244:245]
	v_add_f64 v[12:13], v[12:13], v[240:241]
	v_add_f64 v[18:19], v[18:19], v[28:29]
	v_add_f64 v[218:219], v[30:31], v[240:241]
	v_fma_f64 v[244:245], v[6:7], s[18:19], v[34:35]
	v_fma_f64 v[14:15], v[6:7], s[18:19], v[14:15]
	v_add_f64 v[32:33], v[4:5], v[8:9]
	v_add_f64 v[34:35], v[10:11], -v[0:1]
	v_add_f64 v[186:187], v[2:3], v[220:221]
	v_add_f64 v[220:221], v[220:221], -v[2:3]
	v_add_f64 v[240:241], v[8:9], -v[4:5]
	v_add_f64 v[242:243], v[0:1], v[10:11]
	v_add_f64 v[0:1], v[222:223], v[66:67]
	;; [unrolled: 1-line block ×6, first 2 shown]
	v_add_f64 v[30:31], v[18:19], -v[224:225]
	v_add_f64 v[184:185], v[218:219], -v[14:15]
	v_add_f64 v[218:219], v[14:15], v[218:219]
	v_add_f64 v[244:245], v[12:13], -v[244:245]
	v_add_f64 v[246:247], v[224:225], v[18:19]
	v_add_f64 v[4:5], v[222:223], -v[66:67]
	v_add_f64 v[12:13], v[204:205], -v[216:217]
	;; [unrolled: 1-line block ×3, first 2 shown]
	v_add_f64 v[16:17], v[206:207], v[212:213]
	v_add_f64 v[18:19], v[210:211], v[214:215]
	v_add_f64 v[64:65], v[212:213], -v[206:207]
	v_add_f64 v[66:67], v[214:215], -v[210:211]
	v_add_f64 v[204:205], v[8:9], v[0:1]
	v_add_f64 v[206:207], v[10:11], v[2:3]
	v_add_f64 v[6:7], v[226:227], -v[254:255]
	v_add_f64 v[208:209], v[8:9], -v[0:1]
	;; [unrolled: 1-line block ×7, first 2 shown]
	v_add_f64 v[0:1], v[64:65], v[12:13]
	v_add_f64 v[2:3], v[66:67], v[14:15]
	v_add_f64 v[216:217], v[64:65], -v[12:13]
	v_add_f64 v[16:17], v[16:17], v[204:205]
	v_add_f64 v[18:19], v[18:19], v[206:207]
	v_add_f64 v[222:223], v[66:67], -v[14:15]
	v_add_f64 v[12:13], v[12:13], -v[4:5]
	;; [unrolled: 1-line block ×5, first 2 shown]
	v_add_f64 v[204:205], v[0:1], v[4:5]
	v_add_f64 v[206:207], v[2:3], v[6:7]
	;; [unrolled: 1-line block ×4, first 2 shown]
	v_mul_f64 v[4:5], v[212:213], s[6:7]
	v_mul_f64 v[6:7], v[214:215], s[6:7]
	;; [unrolled: 1-line block ×8, first 2 shown]
	v_fma_f64 v[16:17], v[16:17], s[20:21], v[0:1]
	v_fma_f64 v[18:19], v[18:19], s[20:21], v[2:3]
	;; [unrolled: 1-line block ×6, first 2 shown]
	v_fma_f64 v[180:181], v[208:209], s[22:23], -v[180:181]
	v_fma_f64 v[182:183], v[210:211], s[22:23], -v[182:183]
	v_fma_f64 v[208:209], v[208:209], s[24:25], -v[4:5]
	v_fma_f64 v[210:211], v[210:211], s[24:25], -v[6:7]
	v_fma_f64 v[212:213], v[12:13], s[14:15], -v[212:213]
	v_fma_f64 v[214:215], v[14:15], s[14:15], -v[214:215]
	v_fma_f64 v[64:65], v[64:65], s[28:29], -v[216:217]
	v_fma_f64 v[66:67], v[66:67], s[28:29], -v[222:223]
	v_add_f64 v[4:5], v[8:9], v[16:17]
	v_add_f64 v[8:9], v[10:11], v[18:19]
	v_fma_f64 v[12:13], v[204:205], s[18:19], v[224:225]
	v_fma_f64 v[10:11], v[206:207], s[18:19], v[226:227]
	v_add_f64 v[180:181], v[180:181], v[16:17]
	v_add_f64 v[182:183], v[182:183], v[18:19]
	;; [unrolled: 1-line block ×4, first 2 shown]
	v_fma_f64 v[208:209], v[204:205], s[18:19], v[212:213]
	v_fma_f64 v[210:211], v[206:207], s[18:19], v[214:215]
	;; [unrolled: 1-line block ×4, first 2 shown]
	v_add_f64 v[66:67], v[12:13], v[8:9]
	v_add_f64 v[64:65], v[4:5], -v[10:11]
	ds_write_b128 v96, v[192:195]
	ds_write_b128 v96, v[36:39] offset:3456
	ds_write_b128 v96, v[40:43] offset:6912
	;; [unrolled: 1-line block ×20, first 2 shown]
	v_add_f64 v[224:225], v[208:209], v[182:183]
	v_add_f64 v[222:223], v[180:181], -v[210:211]
	v_add_f64 v[248:249], v[210:211], v[180:181]
	v_add_f64 v[250:251], v[182:183], -v[208:209]
	v_add_f64 v[252:253], v[6:7], -v[16:17]
	v_add_f64 v[254:255], v[18:19], v[14:15]
	v_mov_b32_e32 v219, v67
	v_mov_b32_e32 v218, v66
	;; [unrolled: 1-line block ×4, first 2 shown]
	s_and_saveexec_b64 s[4:5], s[0:1]
	s_cbranch_execz .LBB0_5
; %bb.4:
	v_add_f64 v[14:15], v[14:15], -v[18:19]
	v_add_f64 v[20:21], v[8:9], -v[12:13]
	v_add_f64 v[18:19], v[10:11], v[4:5]
	v_add_f64 v[12:13], v[16:17], v[6:7]
	ds_write_b128 v96, v[0:3] offset:3024
	ds_write_b128 v96, v[222:225] offset:13392
	;; [unrolled: 1-line block ×7, first 2 shown]
.LBB0_5:
	s_or_b64 exec, exec, s[4:5]
	v_lshlrev_b32_e32 v0, 4, v97
	v_add_co_u32_e32 v2, vcc, s12, v0
	v_mov_b32_e32 v0, s13
	v_addc_co_u32_e32 v3, vcc, 0, v0, vcc
	s_movk_i32 s4, 0x5e80
	v_add_co_u32_e32 v16, vcc, s4, v2
	v_addc_co_u32_e32 v17, vcc, 0, v3, vcc
	s_movk_i32 s4, 0x5000
	v_add_co_u32_e32 v0, vcc, s4, v2
	v_addc_co_u32_e32 v1, vcc, 0, v3, vcc
	s_waitcnt lgkmcnt(0)
	; wave barrier
	s_waitcnt lgkmcnt(0)
	global_load_dwordx4 v[8:11], v[0:1], off offset:3712
	ds_read_b128 v[4:7], v96
	s_mov_b32 s4, 0x8000
	s_mov_b32 s7, 0x3febb67a
	s_waitcnt vmcnt(0) lgkmcnt(0)
	v_mul_f64 v[0:1], v[6:7], v[10:11]
	v_fma_f64 v[12:13], v[4:5], v[8:9], -v[0:1]
	v_mul_f64 v[0:1], v[4:5], v[10:11]
	v_fma_f64 v[14:15], v[6:7], v[8:9], v[0:1]
	v_add_co_u32_e32 v0, vcc, s4, v2
	v_addc_co_u32_e32 v1, vcc, 0, v3, vcc
	global_load_dwordx4 v[8:11], v[0:1], off offset:3520
	ds_read_b128 v[4:7], v96 offset:12096
	s_mov_b32 s4, 0x9000
	ds_write_b128 v96, v[12:15]
	v_add_co_u32_e32 v18, vcc, s4, v2
	v_addc_co_u32_e32 v19, vcc, 0, v3, vcc
	s_movk_i32 s4, 0x7000
	s_waitcnt vmcnt(0) lgkmcnt(1)
	v_mul_f64 v[12:13], v[6:7], v[10:11]
	v_fma_f64 v[12:13], v[4:5], v[8:9], -v[12:13]
	v_mul_f64 v[4:5], v[4:5], v[10:11]
	v_fma_f64 v[14:15], v[6:7], v[8:9], v[4:5]
	global_load_dwordx4 v[8:11], v[16:17], off offset:1008
	ds_read_b128 v[4:7], v96 offset:1008
	ds_write_b128 v96, v[12:15] offset:12096
	s_waitcnt vmcnt(0) lgkmcnt(1)
	v_mul_f64 v[12:13], v[6:7], v[10:11]
	v_fma_f64 v[12:13], v[4:5], v[8:9], -v[12:13]
	v_mul_f64 v[4:5], v[4:5], v[10:11]
	v_fma_f64 v[14:15], v[6:7], v[8:9], v[4:5]
	global_load_dwordx4 v[8:11], v[18:19], off offset:432
	ds_read_b128 v[4:7], v96 offset:13104
	ds_write_b128 v96, v[12:15] offset:1008
	;; [unrolled: 8-line block ×6, first 2 shown]
	s_waitcnt vmcnt(0) lgkmcnt(1)
	v_mul_f64 v[12:13], v[6:7], v[10:11]
	v_fma_f64 v[12:13], v[4:5], v[8:9], -v[12:13]
	v_mul_f64 v[4:5], v[4:5], v[10:11]
	v_fma_f64 v[14:15], v[6:7], v[8:9], v[4:5]
	global_load_dwordx4 v[8:11], v[16:17], off offset:4032
	ds_read_b128 v[4:7], v96 offset:4032
	v_add_co_u32_e32 v16, vcc, s4, v2
	v_addc_co_u32_e32 v17, vcc, 0, v3, vcc
	s_mov_b32 s4, 0xa000
	ds_write_b128 v96, v[12:15] offset:15120
	s_waitcnt vmcnt(0) lgkmcnt(1)
	v_mul_f64 v[12:13], v[6:7], v[10:11]
	v_fma_f64 v[12:13], v[4:5], v[8:9], -v[12:13]
	v_mul_f64 v[4:5], v[4:5], v[10:11]
	v_fma_f64 v[14:15], v[6:7], v[8:9], v[4:5]
	global_load_dwordx4 v[8:11], v[18:19], off offset:3456
	ds_read_b128 v[4:7], v96 offset:16128
	v_add_co_u32_e32 v18, vcc, s4, v2
	v_addc_co_u32_e32 v19, vcc, 0, v3, vcc
	s_mov_b32 s4, 0xb000
	ds_write_b128 v96, v[12:15] offset:4032
	s_waitcnt vmcnt(0) lgkmcnt(1)
	v_mul_f64 v[12:13], v[6:7], v[10:11]
	v_fma_f64 v[12:13], v[4:5], v[8:9], -v[12:13]
	v_mul_f64 v[4:5], v[4:5], v[10:11]
	v_fma_f64 v[14:15], v[6:7], v[8:9], v[4:5]
	global_load_dwordx4 v[8:11], v[16:17], off offset:560
	ds_read_b128 v[4:7], v96 offset:5040
	ds_write_b128 v96, v[12:15] offset:16128
	s_waitcnt vmcnt(0) lgkmcnt(1)
	v_mul_f64 v[12:13], v[6:7], v[10:11]
	v_fma_f64 v[12:13], v[4:5], v[8:9], -v[12:13]
	v_mul_f64 v[4:5], v[4:5], v[10:11]
	v_fma_f64 v[14:15], v[6:7], v[8:9], v[4:5]
	global_load_dwordx4 v[8:11], v[18:19], off offset:368
	ds_read_b128 v[4:7], v96 offset:17136
	;; [unrolled: 8-line block ×9, first 2 shown]
	ds_write_b128 v96, v[12:15] offset:20160
	s_waitcnt vmcnt(0) lgkmcnt(1)
	v_mul_f64 v[12:13], v[6:7], v[10:11]
	v_fma_f64 v[12:13], v[4:5], v[8:9], -v[12:13]
	v_mul_f64 v[4:5], v[4:5], v[10:11]
	v_fma_f64 v[14:15], v[6:7], v[8:9], v[4:5]
	ds_read_b128 v[4:7], v96 offset:21168
	ds_write_b128 v96, v[12:15] offset:9072
	v_add_co_u32_e32 v14, vcc, s4, v2
	v_addc_co_u32_e32 v15, vcc, 0, v3, vcc
	global_load_dwordx4 v[8:11], v[14:15], off offset:304
	s_mov_b32 s4, 0xe8584caa
	s_mov_b32 s5, 0xbfebb67a
	;; [unrolled: 1-line block ×3, first 2 shown]
	s_waitcnt vmcnt(0) lgkmcnt(1)
	v_mul_f64 v[2:3], v[6:7], v[10:11]
	v_fma_f64 v[2:3], v[4:5], v[8:9], -v[2:3]
	v_mul_f64 v[4:5], v[4:5], v[10:11]
	v_fma_f64 v[4:5], v[6:7], v[8:9], v[4:5]
	global_load_dwordx4 v[6:9], v[0:1], off offset:1504
	ds_write_b128 v96, v[2:5] offset:21168
	ds_read_b128 v[2:5], v96 offset:10080
	s_waitcnt vmcnt(0) lgkmcnt(0)
	v_mul_f64 v[10:11], v[4:5], v[8:9]
	v_fma_f64 v[10:11], v[2:3], v[6:7], -v[10:11]
	v_mul_f64 v[2:3], v[2:3], v[8:9]
	v_fma_f64 v[12:13], v[4:5], v[6:7], v[2:3]
	global_load_dwordx4 v[6:9], v[14:15], off offset:1312
	ds_read_b128 v[2:5], v96 offset:22176
	ds_write_b128 v96, v[10:13] offset:10080
	s_waitcnt vmcnt(0) lgkmcnt(1)
	v_mul_f64 v[10:11], v[4:5], v[8:9]
	v_fma_f64 v[10:11], v[2:3], v[6:7], -v[10:11]
	v_mul_f64 v[2:3], v[2:3], v[8:9]
	v_fma_f64 v[12:13], v[4:5], v[6:7], v[2:3]
	global_load_dwordx4 v[6:9], v[0:1], off offset:2512
	ds_read_b128 v[2:5], v96 offset:11088
	ds_write_b128 v96, v[10:13] offset:22176
	s_waitcnt vmcnt(0) lgkmcnt(1)
	v_mul_f64 v[0:1], v[4:5], v[8:9]
	v_fma_f64 v[0:1], v[2:3], v[6:7], -v[0:1]
	v_mul_f64 v[2:3], v[2:3], v[8:9]
	v_fma_f64 v[2:3], v[4:5], v[6:7], v[2:3]
	global_load_dwordx4 v[4:7], v[14:15], off offset:2320
	ds_write_b128 v96, v[0:3] offset:11088
	ds_read_b128 v[0:3], v96 offset:23184
	s_waitcnt vmcnt(0) lgkmcnt(0)
	v_mul_f64 v[8:9], v[2:3], v[6:7]
	v_fma_f64 v[8:9], v[0:1], v[4:5], -v[8:9]
	v_mul_f64 v[0:1], v[0:1], v[6:7]
	v_fma_f64 v[10:11], v[2:3], v[4:5], v[0:1]
	ds_write_b128 v96, v[8:11] offset:23184
	s_waitcnt lgkmcnt(0)
	; wave barrier
	s_waitcnt lgkmcnt(0)
	ds_read_b128 v[0:3], v96
	ds_read_b128 v[4:7], v96 offset:12096
	ds_read_b128 v[8:11], v96 offset:1008
	;; [unrolled: 1-line block ×23, first 2 shown]
	s_waitcnt lgkmcnt(14)
	v_add_f64 v[4:5], v[0:1], -v[4:5]
	v_add_f64 v[6:7], v[2:3], -v[6:7]
	s_waitcnt lgkmcnt(0)
	; wave barrier
	s_waitcnt lgkmcnt(0)
	v_add_f64 v[12:13], v[8:9], -v[12:13]
	v_add_f64 v[14:15], v[10:11], -v[14:15]
	;; [unrolled: 1-line block ×4, first 2 shown]
	v_fma_f64 v[0:1], v[0:1], 2.0, -v[4:5]
	v_fma_f64 v[2:3], v[2:3], 2.0, -v[6:7]
	ds_write_b128 v99, v[0:3]
	ds_write_b128 v99, v[4:7] offset:16
	buffer_load_dword v0, off, s[36:39], 0 offset:1508 ; 4-byte Folded Reload
	v_fma_f64 v[8:9], v[8:9], 2.0, -v[12:13]
	v_fma_f64 v[10:11], v[10:11], 2.0, -v[14:15]
	;; [unrolled: 1-line block ×4, first 2 shown]
	v_add_f64 v[28:29], v[24:25], -v[28:29]
	v_add_f64 v[30:31], v[26:27], -v[30:31]
	;; [unrolled: 1-line block ×8, first 2 shown]
	v_fma_f64 v[24:25], v[24:25], 2.0, -v[28:29]
	s_waitcnt vmcnt(0)
	ds_write_b128 v0, v[8:11]
	ds_write_b128 v0, v[12:15] offset:16
	buffer_load_dword v0, off, s[36:39], 0 offset:1504 ; 4-byte Folded Reload
	v_fma_f64 v[26:27], v[26:27], 2.0, -v[30:31]
	v_fma_f64 v[32:33], v[32:33], 2.0, -v[36:37]
	;; [unrolled: 1-line block ×7, first 2 shown]
	v_add_f64 v[180:181], v[56:57], -v[180:181]
	v_add_f64 v[182:183], v[58:59], -v[182:183]
	;; [unrolled: 1-line block ×6, first 2 shown]
	s_waitcnt vmcnt(0)
	ds_write_b128 v0, v[16:19]
	ds_write_b128 v0, v[20:23] offset:16
	buffer_load_dword v0, off, s[36:39], 0 offset:1500 ; 4-byte Folded Reload
	v_fma_f64 v[56:57], v[56:57], 2.0, -v[180:181]
	v_fma_f64 v[58:59], v[58:59], 2.0, -v[182:183]
	;; [unrolled: 1-line block ×6, first 2 shown]
	v_add_f64 v[204:205], v[200:201], -v[204:205]
	v_add_f64 v[206:207], v[202:203], -v[206:207]
	;; [unrolled: 1-line block ×4, first 2 shown]
	s_waitcnt vmcnt(0)
	ds_write_b128 v0, v[24:27]
	ds_write_b128 v0, v[28:31] offset:16
	buffer_load_dword v0, off, s[36:39], 0 offset:1496 ; 4-byte Folded Reload
	v_fma_f64 v[200:201], v[200:201], 2.0, -v[204:205]
	v_fma_f64 v[202:203], v[202:203], 2.0, -v[206:207]
	v_fma_f64 v[208:209], v[208:209], 2.0, -v[212:213]
	v_fma_f64 v[210:211], v[210:211], 2.0, -v[214:215]
	s_waitcnt vmcnt(0)
	ds_write_b128 v0, v[32:35]
	ds_write_b128 v0, v[36:39] offset:16
	buffer_load_dword v0, off, s[36:39], 0 offset:1492 ; 4-byte Folded Reload
	s_waitcnt vmcnt(0)
	ds_write_b128 v0, v[40:43]
	ds_write_b128 v0, v[44:47] offset:16
	buffer_load_dword v0, off, s[36:39], 0 offset:1488 ; 4-byte Folded Reload
	s_waitcnt vmcnt(0)
	ds_write_b128 v0, v[48:51]
	ds_write_b128 v0, v[52:55] offset:16
	buffer_load_dword v0, off, s[36:39], 0 offset:1484 ; 4-byte Folded Reload
	s_waitcnt vmcnt(0)
	ds_write_b128 v0, v[56:59]
	ds_write_b128 v0, v[180:183] offset:16
	buffer_load_dword v0, off, s[36:39], 0 offset:1480 ; 4-byte Folded Reload
	s_waitcnt vmcnt(0)
	ds_write_b128 v0, v[184:187]
	ds_write_b128 v0, v[188:191] offset:16
	buffer_load_dword v0, off, s[36:39], 0 offset:1476 ; 4-byte Folded Reload
	s_waitcnt vmcnt(0)
	ds_write_b128 v0, v[192:195]
	ds_write_b128 v0, v[196:199] offset:16
	buffer_load_dword v0, off, s[36:39], 0 offset:1472 ; 4-byte Folded Reload
	s_waitcnt vmcnt(0)
	ds_write_b128 v0, v[200:203]
	ds_write_b128 v0, v[204:207] offset:16
	buffer_load_dword v0, off, s[36:39], 0 offset:1452 ; 4-byte Folded Reload
	s_waitcnt vmcnt(0)
	ds_write_b128 v0, v[208:211]
	ds_write_b128 v0, v[212:215] offset:16
	s_waitcnt lgkmcnt(0)
	; wave barrier
	s_waitcnt lgkmcnt(0)
	ds_read_b128 v[0:3], v96
	ds_read_b128 v[4:7], v96 offset:12096
	ds_read_b128 v[8:11], v96 offset:1008
	;; [unrolled: 1-line block ×23, first 2 shown]
	buffer_load_dword v68, off, s[36:39], 0 offset:1512 ; 4-byte Folded Reload
	buffer_load_dword v69, off, s[36:39], 0 offset:1516 ; 4-byte Folded Reload
	s_waitcnt lgkmcnt(14)
	v_mul_f64 v[64:65], v[150:151], v[6:7]
	v_fma_f64 v[64:65], v[148:149], v[4:5], v[64:65]
	v_mul_f64 v[4:5], v[150:151], v[4:5]
	v_fma_f64 v[6:7], v[148:149], v[6:7], -v[4:5]
	v_mul_f64 v[4:5], v[146:147], v[14:15]
	v_add_f64 v[6:7], v[2:3], -v[6:7]
	v_fma_f64 v[2:3], v[2:3], 2.0, -v[6:7]
	s_waitcnt vmcnt(0)
	v_fma_f64 v[66:67], v[68:69], v[12:13], v[4:5]
	v_mul_f64 v[4:5], v[146:147], v[12:13]
	buffer_load_dword v12, off, s[36:39], 0 offset:1424 ; 4-byte Folded Reload
	buffer_load_dword v13, off, s[36:39], 0 offset:1428 ; 4-byte Folded Reload
	s_waitcnt lgkmcnt(0)
	; wave barrier
	s_waitcnt lgkmcnt(0)
	v_fma_f64 v[14:15], v[68:69], v[14:15], -v[4:5]
	v_mul_f64 v[4:5], v[150:151], v[22:23]
	v_add_f64 v[14:15], v[10:11], -v[14:15]
	v_fma_f64 v[98:99], v[148:149], v[20:21], v[4:5]
	v_mul_f64 v[4:5], v[150:151], v[20:21]
	v_fma_f64 v[10:11], v[10:11], 2.0, -v[14:15]
	v_add_f64 v[20:21], v[16:17], -v[98:99]
	v_fma_f64 v[22:23], v[148:149], v[22:23], -v[4:5]
	v_mul_f64 v[4:5], v[178:179], v[30:31]
	v_fma_f64 v[16:17], v[16:17], 2.0, -v[20:21]
	v_add_f64 v[22:23], v[18:19], -v[22:23]
	v_fma_f64 v[146:147], v[176:177], v[28:29], v[4:5]
	v_mul_f64 v[4:5], v[178:179], v[28:29]
	v_fma_f64 v[18:19], v[18:19], 2.0, -v[22:23]
	v_add_f64 v[28:29], v[24:25], -v[146:147]
	v_fma_f64 v[30:31], v[176:177], v[30:31], -v[4:5]
	v_mul_f64 v[4:5], v[150:151], v[38:39]
	v_fma_f64 v[24:25], v[24:25], 2.0, -v[28:29]
	;; [unrolled: 8-line block ×5, first 2 shown]
	v_add_f64 v[54:55], v[50:51], -v[54:55]
	v_fma_f64 v[174:175], v[168:169], v[180:181], v[4:5]
	v_mul_f64 v[4:5], v[170:171], v[180:181]
	v_fma_f64 v[50:51], v[50:51], 2.0, -v[54:55]
	v_fma_f64 v[168:169], v[168:169], v[182:183], -v[4:5]
	v_mul_f64 v[4:5], v[150:151], v[190:191]
	v_add_f64 v[146:147], v[58:59], -v[168:169]
	v_fma_f64 v[170:171], v[148:149], v[188:189], v[4:5]
	v_mul_f64 v[4:5], v[150:151], v[188:189]
	v_fma_f64 v[58:59], v[58:59], 2.0, -v[146:147]
	v_fma_f64 v[180:181], v[148:149], v[190:191], -v[4:5]
	v_mul_f64 v[4:5], v[166:167], v[198:199]
	v_fma_f64 v[182:183], v[164:165], v[196:197], v[4:5]
	v_mul_f64 v[4:5], v[166:167], v[196:197]
	v_add_f64 v[168:169], v[192:193], -v[182:183]
	v_fma_f64 v[188:189], v[164:165], v[198:199], -v[4:5]
	v_mul_f64 v[4:5], v[150:151], v[206:207]
	v_fma_f64 v[172:173], v[192:193], 2.0, -v[168:169]
	v_fma_f64 v[190:191], v[148:149], v[204:205], v[4:5]
	v_mul_f64 v[4:5], v[150:151], v[204:205]
	v_add_f64 v[150:151], v[186:187], -v[180:181]
	v_add_f64 v[176:177], v[200:201], -v[190:191]
	v_fma_f64 v[196:197], v[148:149], v[206:207], -v[4:5]
	s_waitcnt vmcnt(0)
	v_mul_f64 v[4:5], v[12:13], v[214:215]
	v_add_f64 v[148:149], v[184:185], -v[170:171]
	v_fma_f64 v[166:167], v[186:187], 2.0, -v[150:151]
	v_add_f64 v[170:171], v[194:195], -v[188:189]
	v_fma_f64 v[180:181], v[200:201], 2.0, -v[176:177]
	v_add_f64 v[178:179], v[202:203], -v[196:197]
	v_fma_f64 v[198:199], v[144:145], v[212:213], v[4:5]
	v_mul_f64 v[4:5], v[12:13], v[212:213]
	v_add_f64 v[12:13], v[8:9], -v[66:67]
	v_fma_f64 v[164:165], v[184:185], 2.0, -v[148:149]
	v_fma_f64 v[182:183], v[202:203], 2.0, -v[178:179]
	v_add_f64 v[184:185], v[208:209], -v[198:199]
	v_fma_f64 v[204:205], v[144:145], v[214:215], -v[4:5]
	v_add_f64 v[4:5], v[0:1], -v[64:65]
	buffer_load_dword v64, off, s[36:39], 0 offset:1416 ; 4-byte Folded Reload
	v_fma_f64 v[8:9], v[8:9], 2.0, -v[12:13]
	v_add_f64 v[144:145], v[56:57], -v[174:175]
	v_fma_f64 v[174:175], v[194:195], 2.0, -v[170:171]
	v_fma_f64 v[188:189], v[208:209], 2.0, -v[184:185]
	v_add_f64 v[186:187], v[210:211], -v[204:205]
	v_fma_f64 v[0:1], v[0:1], 2.0, -v[4:5]
	s_waitcnt vmcnt(0)
	ds_write_b128 v64, v[0:3]
	ds_write_b128 v64, v[4:7] offset:32
	buffer_load_dword v0, off, s[36:39], 0 offset:1412 ; 4-byte Folded Reload
	s_waitcnt vmcnt(0)
	ds_write_b128 v0, v[8:11]
	ds_write_b128 v0, v[12:15] offset:32
	buffer_load_dword v0, off, s[36:39], 0 offset:1436 ; 4-byte Folded Reload
	s_waitcnt vmcnt(0)
	ds_write_b128 v0, v[16:19]
	ds_write_b128 v0, v[20:23] offset:32
	buffer_load_dword v0, off, s[36:39], 0 offset:1440 ; 4-byte Folded Reload
	s_waitcnt vmcnt(0)
	ds_write_b128 v0, v[24:27]
	ds_write_b128 v0, v[28:31] offset:32
	buffer_load_dword v0, off, s[36:39], 0 offset:1432 ; 4-byte Folded Reload
	s_waitcnt vmcnt(0)
	ds_write_b128 v0, v[32:35]
	ds_write_b128 v0, v[36:39] offset:32
	buffer_load_dword v0, off, s[36:39], 0 offset:1420 ; 4-byte Folded Reload
	s_waitcnt vmcnt(0)
	ds_write_b128 v0, v[40:43]
	ds_write_b128 v0, v[44:47] offset:32
	buffer_load_dword v0, off, s[36:39], 0 offset:1408 ; 4-byte Folded Reload
	s_waitcnt vmcnt(0)
	ds_write_b128 v0, v[48:51]
	ds_write_b128 v0, v[52:55] offset:32
	buffer_load_dword v0, off, s[36:39], 0 offset:1404 ; 4-byte Folded Reload
	v_fma_f64 v[56:57], v[56:57], 2.0, -v[144:145]
	s_waitcnt vmcnt(0)
	ds_write_b128 v0, v[56:59]
	ds_write_b128 v0, v[144:147] offset:32
	buffer_load_dword v0, off, s[36:39], 0 offset:1400 ; 4-byte Folded Reload
	s_waitcnt vmcnt(0)
	ds_write_b128 v0, v[164:167]
	ds_write_b128 v0, v[148:151] offset:32
	buffer_load_dword v0, off, s[36:39], 0 offset:1396 ; 4-byte Folded Reload
	;; [unrolled: 4-line block ×4, first 2 shown]
	v_fma_f64 v[190:191], v[210:211], 2.0, -v[186:187]
	s_waitcnt vmcnt(0)
	ds_write_b128 v0, v[188:191]
	ds_write_b128 v0, v[184:187] offset:32
	s_waitcnt lgkmcnt(0)
	; wave barrier
	s_waitcnt lgkmcnt(0)
	ds_read_b128 v[0:3], v96
	ds_read_b128 v[4:7], v96 offset:12096
	ds_read_b128 v[8:11], v96 offset:1008
	;; [unrolled: 1-line block ×23, first 2 shown]
	buffer_load_dword v68, off, s[36:39], 0 offset:1444 ; 4-byte Folded Reload
	buffer_load_dword v69, off, s[36:39], 0 offset:1448 ; 4-byte Folded Reload
	s_waitcnt lgkmcnt(14)
	v_mul_f64 v[64:65], v[102:103], v[6:7]
	v_fma_f64 v[64:65], v[100:101], v[4:5], v[64:65]
	v_mul_f64 v[4:5], v[102:103], v[4:5]
	v_fma_f64 v[6:7], v[100:101], v[6:7], -v[4:5]
	v_mul_f64 v[4:5], v[130:131], v[14:15]
	v_add_f64 v[6:7], v[2:3], -v[6:7]
	v_fma_f64 v[2:3], v[2:3], 2.0, -v[6:7]
	s_waitcnt vmcnt(0)
	v_fma_f64 v[66:67], v[68:69], v[12:13], v[4:5]
	v_mul_f64 v[4:5], v[130:131], v[12:13]
	buffer_load_dword v12, off, s[36:39], 0 offset:1464 ; 4-byte Folded Reload
	buffer_load_dword v13, off, s[36:39], 0 offset:1468 ; 4-byte Folded Reload
	v_fma_f64 v[14:15], v[68:69], v[14:15], -v[4:5]
	v_mul_f64 v[4:5], v[122:123], v[22:23]
	v_add_f64 v[14:15], v[10:11], -v[14:15]
	v_fma_f64 v[10:11], v[10:11], 2.0, -v[14:15]
	s_waitcnt vmcnt(0)
	v_fma_f64 v[98:99], v[12:13], v[20:21], v[4:5]
	v_mul_f64 v[4:5], v[122:123], v[20:21]
	v_add_f64 v[20:21], v[16:17], -v[98:99]
	v_fma_f64 v[22:23], v[12:13], v[22:23], -v[4:5]
	buffer_load_dword v12, off, s[36:39], 0 offset:1456 ; 4-byte Folded Reload
	buffer_load_dword v13, off, s[36:39], 0 offset:1460 ; 4-byte Folded Reload
	v_mul_f64 v[4:5], v[126:127], v[30:31]
	v_fma_f64 v[16:17], v[16:17], 2.0, -v[20:21]
	v_add_f64 v[22:23], v[18:19], -v[22:23]
	v_fma_f64 v[18:19], v[18:19], 2.0, -v[22:23]
	s_waitcnt vmcnt(0)
	v_fma_f64 v[122:123], v[12:13], v[28:29], v[4:5]
	v_mul_f64 v[4:5], v[126:127], v[28:29]
	v_add_f64 v[28:29], v[24:25], -v[122:123]
	v_fma_f64 v[30:31], v[12:13], v[30:31], -v[4:5]
	v_mul_f64 v[4:5], v[102:103], v[38:39]
	buffer_load_dword v12, off, s[36:39], 0 offset:1372 ; 4-byte Folded Reload
	buffer_load_dword v13, off, s[36:39], 0 offset:1376 ; 4-byte Folded Reload
	v_fma_f64 v[24:25], v[24:25], 2.0, -v[28:29]
	v_add_f64 v[30:31], v[26:27], -v[30:31]
	v_fma_f64 v[126:127], v[100:101], v[36:37], v[4:5]
	v_mul_f64 v[4:5], v[102:103], v[36:37]
	v_fma_f64 v[26:27], v[26:27], 2.0, -v[30:31]
	v_add_f64 v[36:37], v[32:33], -v[126:127]
	v_fma_f64 v[38:39], v[100:101], v[38:39], -v[4:5]
	s_waitcnt lgkmcnt(12)
	v_mul_f64 v[4:5], v[154:155], v[46:47]
	v_fma_f64 v[32:33], v[32:33], 2.0, -v[36:37]
	v_add_f64 v[38:39], v[34:35], -v[38:39]
	v_fma_f64 v[130:131], v[152:153], v[44:45], v[4:5]
	v_mul_f64 v[4:5], v[154:155], v[44:45]
	v_fma_f64 v[34:35], v[34:35], 2.0, -v[38:39]
	v_add_f64 v[44:45], v[40:41], -v[130:131]
	v_fma_f64 v[46:47], v[152:153], v[46:47], -v[4:5]
	s_waitcnt lgkmcnt(10)
	v_mul_f64 v[4:5], v[158:159], v[54:55]
	v_fma_f64 v[40:41], v[40:41], 2.0, -v[44:45]
	v_add_f64 v[46:47], v[42:43], -v[46:47]
	v_fma_f64 v[152:153], v[156:157], v[52:53], v[4:5]
	v_mul_f64 v[4:5], v[158:159], v[52:53]
	v_fma_f64 v[42:43], v[42:43], 2.0, -v[46:47]
	v_add_f64 v[52:53], v[48:49], -v[152:153]
	v_fma_f64 v[54:55], v[156:157], v[54:55], -v[4:5]
	s_waitcnt lgkmcnt(8)
	v_mul_f64 v[4:5], v[162:163], v[146:147]
	v_fma_f64 v[48:49], v[48:49], 2.0, -v[52:53]
	v_add_f64 v[54:55], v[50:51], -v[54:55]
	v_fma_f64 v[154:155], v[160:161], v[144:145], v[4:5]
	v_mul_f64 v[4:5], v[162:163], v[144:145]
	v_fma_f64 v[50:51], v[50:51], 2.0, -v[54:55]
	v_add_f64 v[98:99], v[56:57], -v[154:155]
	v_fma_f64 v[144:145], v[160:161], v[146:147], -v[4:5]
	s_waitcnt lgkmcnt(6)
	v_mul_f64 v[4:5], v[102:103], v[166:167]
	v_fma_f64 v[56:57], v[56:57], 2.0, -v[98:99]
	v_fma_f64 v[146:147], v[100:101], v[164:165], v[4:5]
	v_mul_f64 v[4:5], v[102:103], v[164:165]
	v_fma_f64 v[102:103], v[100:101], v[166:167], -v[4:5]
	s_waitcnt vmcnt(0) lgkmcnt(4)
	v_mul_f64 v[4:5], v[12:13], v[174:175]
	v_add_f64 v[100:101], v[58:59], -v[144:145]
	v_add_f64 v[122:123], v[150:151], -v[102:103]
	v_fma_f64 v[156:157], v[128:129], v[172:173], v[4:5]
	v_mul_f64 v[4:5], v[12:13], v[172:173]
	buffer_load_dword v12, off, s[36:39], 0 offset:1380 ; 4-byte Folded Reload
	buffer_load_dword v13, off, s[36:39], 0 offset:1384 ; 4-byte Folded Reload
	v_fma_f64 v[58:59], v[58:59], 2.0, -v[100:101]
	v_fma_f64 v[126:127], v[150:151], 2.0, -v[122:123]
	v_fma_f64 v[158:159], v[128:129], v[174:175], -v[4:5]
	v_add_f64 v[128:129], v[168:169], -v[156:157]
	v_add_f64 v[130:131], v[170:171], -v[158:159]
	v_fma_f64 v[144:145], v[168:169], 2.0, -v[128:129]
	s_waitcnt vmcnt(0) lgkmcnt(2)
	v_mul_f64 v[4:5], v[12:13], v[182:183]
	v_fma_f64 v[160:161], v[120:121], v[180:181], v[4:5]
	v_mul_f64 v[4:5], v[12:13], v[180:181]
	buffer_load_dword v12, off, s[36:39], 0 offset:1364 ; 4-byte Folded Reload
	buffer_load_dword v13, off, s[36:39], 0 offset:1368 ; 4-byte Folded Reload
	s_waitcnt lgkmcnt(0)
	; wave barrier
	s_waitcnt lgkmcnt(0)
	v_fma_f64 v[162:163], v[120:121], v[182:183], -v[4:5]
	v_add_f64 v[120:121], v[148:149], -v[146:147]
	v_fma_f64 v[146:147], v[170:171], 2.0, -v[130:131]
	v_add_f64 v[150:151], v[178:179], -v[162:163]
	v_fma_f64 v[154:155], v[178:179], 2.0, -v[150:151]
	s_waitcnt vmcnt(0)
	v_mul_f64 v[4:5], v[12:13], v[190:191]
	v_fma_f64 v[164:165], v[124:125], v[188:189], v[4:5]
	v_mul_f64 v[4:5], v[12:13], v[188:189]
	v_add_f64 v[12:13], v[8:9], -v[66:67]
	v_add_f64 v[156:157], v[184:185], -v[164:165]
	v_fma_f64 v[166:167], v[124:125], v[190:191], -v[4:5]
	v_add_f64 v[4:5], v[0:1], -v[64:65]
	buffer_load_dword v64, off, s[36:39], 0 offset:1360 ; 4-byte Folded Reload
	v_fma_f64 v[8:9], v[8:9], 2.0, -v[12:13]
	v_fma_f64 v[124:125], v[148:149], 2.0, -v[120:121]
	v_add_f64 v[148:149], v[176:177], -v[160:161]
	v_fma_f64 v[160:161], v[184:185], 2.0, -v[156:157]
	v_add_f64 v[158:159], v[186:187], -v[166:167]
	v_fma_f64 v[0:1], v[0:1], 2.0, -v[4:5]
	s_waitcnt vmcnt(0)
	ds_write_b128 v64, v[0:3]
	ds_write_b128 v64, v[4:7] offset:64
	buffer_load_dword v0, off, s[36:39], 0 offset:1356 ; 4-byte Folded Reload
	s_waitcnt vmcnt(0)
	ds_write_b128 v0, v[8:11]
	ds_write_b128 v0, v[12:15] offset:64
	buffer_load_dword v0, off, s[36:39], 0 offset:1352 ; 4-byte Folded Reload
	;; [unrolled: 4-line block ×10, first 2 shown]
	v_fma_f64 v[152:153], v[176:177], 2.0, -v[148:149]
	s_waitcnt vmcnt(0)
	ds_write_b128 v0, v[152:155]
	ds_write_b128 v0, v[148:151] offset:64
	buffer_load_dword v0, off, s[36:39], 0 offset:1324 ; 4-byte Folded Reload
	v_fma_f64 v[162:163], v[186:187], 2.0, -v[158:159]
	s_waitcnt vmcnt(0)
	ds_write_b128 v0, v[160:163]
	ds_write_b128 v0, v[156:159] offset:64
	s_waitcnt lgkmcnt(0)
	; wave barrier
	s_waitcnt lgkmcnt(0)
	ds_read_b128 v[156:159], v96
	ds_read_b128 v[0:3], v96 offset:8064
	ds_read_b128 v[4:7], v96 offset:16128
	;; [unrolled: 1-line block ×23, first 2 shown]
	s_waitcnt lgkmcnt(14)
	v_mul_f64 v[64:65], v[74:75], v[2:3]
	v_fma_f64 v[98:99], v[72:73], v[0:1], v[64:65]
	buffer_load_dword v64, off, s[36:39], 0 offset:1284 ; 4-byte Folded Reload
	buffer_load_dword v65, off, s[36:39], 0 offset:1288 ; 4-byte Folded Reload
	;; [unrolled: 1-line block ×4, first 2 shown]
	v_mul_f64 v[0:1], v[74:75], v[0:1]
	v_fma_f64 v[74:75], v[72:73], v[2:3], -v[0:1]
	s_waitcnt vmcnt(0)
	v_mul_f64 v[0:1], v[66:67], v[6:7]
	v_fma_f64 v[164:165], v[64:65], v[4:5], v[0:1]
	v_mul_f64 v[0:1], v[66:67], v[4:5]
	buffer_load_dword v2, off, s[36:39], 0 offset:1300 ; 4-byte Folded Reload
	buffer_load_dword v3, off, s[36:39], 0 offset:1304 ; 4-byte Folded Reload
	;; [unrolled: 1-line block ×4, first 2 shown]
	s_waitcnt lgkmcnt(0)
	; wave barrier
	s_waitcnt lgkmcnt(0)
	v_fma_f64 v[166:167], v[64:65], v[6:7], -v[0:1]
	v_mul_f64 v[0:1], v[78:79], v[10:11]
	v_mul_f64 v[6:7], v[142:143], v[160:161]
	v_fma_f64 v[168:169], v[76:77], v[8:9], v[0:1]
	v_mul_f64 v[0:1], v[78:79], v[8:9]
	v_fma_f64 v[6:7], v[140:141], v[162:163], -v[6:7]
	v_fma_f64 v[76:77], v[76:77], v[10:11], -v[0:1]
	s_waitcnt vmcnt(0)
	v_mul_f64 v[0:1], v[4:5], v[14:15]
	v_fma_f64 v[78:79], v[2:3], v[12:13], v[0:1]
	v_mul_f64 v[0:1], v[4:5], v[12:13]
	v_fma_f64 v[170:171], v[2:3], v[14:15], -v[0:1]
	v_mul_f64 v[0:1], v[82:83], v[18:19]
	v_add_f64 v[14:15], v[156:157], v[98:99]
	v_mul_f64 v[2:3], v[138:139], v[56:57]
	v_fma_f64 v[172:173], v[80:81], v[16:17], v[0:1]
	v_mul_f64 v[0:1], v[82:83], v[16:17]
	v_add_f64 v[64:65], v[14:15], v[164:165]
	v_add_f64 v[14:15], v[98:99], v[164:165]
	v_add_f64 v[16:17], v[74:75], -v[166:167]
	v_fma_f64 v[4:5], v[136:137], v[58:59], -v[2:3]
	v_mul_f64 v[2:3], v[142:143], v[162:163]
	v_fma_f64 v[80:81], v[80:81], v[18:19], -v[0:1]
	v_mul_f64 v[0:1], v[90:91], v[22:23]
	v_fma_f64 v[14:15], v[14:15], -0.5, v[156:157]
	v_fma_f64 v[2:3], v[140:141], v[160:161], v[2:3]
	v_fma_f64 v[82:83], v[88:89], v[20:21], v[0:1]
	v_mul_f64 v[0:1], v[90:91], v[20:21]
	v_fma_f64 v[72:73], v[16:17], s[4:5], v[14:15]
	v_fma_f64 v[68:69], v[16:17], s[6:7], v[14:15]
	v_add_f64 v[14:15], v[158:159], v[74:75]
	v_add_f64 v[16:17], v[98:99], -v[164:165]
	v_add_f64 v[20:21], v[76:77], -v[170:171]
	v_fma_f64 v[88:89], v[88:89], v[22:23], -v[0:1]
	v_mul_f64 v[0:1], v[86:87], v[26:27]
	v_add_f64 v[66:67], v[14:15], v[166:167]
	v_add_f64 v[14:15], v[74:75], v[166:167]
	v_fma_f64 v[90:91], v[84:85], v[24:25], v[0:1]
	v_mul_f64 v[0:1], v[86:87], v[24:25]
	v_fma_f64 v[14:15], v[14:15], -0.5, v[158:159]
	v_fma_f64 v[84:85], v[84:85], v[26:27], -v[0:1]
	v_mul_f64 v[0:1], v[94:95], v[30:31]
	v_fma_f64 v[74:75], v[16:17], s[6:7], v[14:15]
	v_fma_f64 v[70:71], v[16:17], s[4:5], v[14:15]
	v_add_f64 v[16:17], v[168:169], v[78:79]
	v_add_f64 v[14:15], v[152:153], v[168:169]
	v_add_f64 v[26:27], v[168:169], -v[78:79]
	v_fma_f64 v[86:87], v[92:93], v[28:29], v[0:1]
	v_mul_f64 v[0:1], v[94:95], v[28:29]
	v_add_f64 v[28:29], v[172:173], v[82:83]
	v_fma_f64 v[16:17], v[16:17], -0.5, v[152:153]
	v_add_f64 v[14:15], v[14:15], v[78:79]
	v_fma_f64 v[92:93], v[92:93], v[30:31], -v[0:1]
	v_mul_f64 v[0:1], v[62:63], v[34:35]
	v_fma_f64 v[18:19], v[20:21], s[4:5], v[16:17]
	v_fma_f64 v[22:23], v[20:21], s[6:7], v[16:17]
	v_add_f64 v[16:17], v[154:155], v[76:77]
	v_add_f64 v[20:21], v[76:77], v[170:171]
	v_fma_f64 v[28:29], v[28:29], -0.5, v[148:149]
	v_fma_f64 v[94:95], v[60:61], v[32:33], v[0:1]
	v_mul_f64 v[0:1], v[62:63], v[32:33]
	v_add_f64 v[32:33], v[80:81], -v[88:89]
	v_add_f64 v[16:17], v[16:17], v[170:171]
	v_fma_f64 v[24:25], v[20:21], -0.5, v[154:155]
	v_fma_f64 v[60:61], v[60:61], v[34:35], -v[0:1]
	v_mul_f64 v[0:1], v[106:107], v[38:39]
	v_fma_f64 v[30:31], v[32:33], s[4:5], v[28:29]
	v_fma_f64 v[34:35], v[32:33], s[6:7], v[28:29]
	v_add_f64 v[32:33], v[80:81], v[88:89]
	v_add_f64 v[28:29], v[150:151], v[80:81]
	v_fma_f64 v[20:21], v[26:27], s[6:7], v[24:25]
	v_fma_f64 v[24:25], v[26:27], s[4:5], v[24:25]
	v_add_f64 v[26:27], v[148:149], v[172:173]
	v_fma_f64 v[62:63], v[104:105], v[36:37], v[0:1]
	v_mul_f64 v[0:1], v[106:107], v[36:37]
	v_fma_f64 v[36:37], v[32:33], -0.5, v[150:151]
	v_add_f64 v[28:29], v[28:29], v[88:89]
	v_add_f64 v[26:27], v[26:27], v[82:83]
	v_fma_f64 v[104:105], v[104:105], v[38:39], -v[0:1]
	v_mul_f64 v[0:1], v[110:111], v[42:43]
	v_add_f64 v[38:39], v[172:173], -v[82:83]
	v_fma_f64 v[106:107], v[108:109], v[40:41], v[0:1]
	v_mul_f64 v[0:1], v[110:111], v[40:41]
	v_add_f64 v[40:41], v[90:91], v[86:87]
	v_fma_f64 v[32:33], v[38:39], s[6:7], v[36:37]
	v_fma_f64 v[36:37], v[38:39], s[4:5], v[36:37]
	v_add_f64 v[38:39], v[144:145], v[90:91]
	v_fma_f64 v[108:109], v[108:109], v[42:43], -v[0:1]
	v_mul_f64 v[0:1], v[114:115], v[46:47]
	v_fma_f64 v[40:41], v[40:41], -0.5, v[144:145]
	v_add_f64 v[38:39], v[38:39], v[86:87]
	v_fma_f64 v[110:111], v[112:113], v[44:45], v[0:1]
	v_mul_f64 v[0:1], v[114:115], v[44:45]
	v_add_f64 v[44:45], v[84:85], -v[92:93]
	v_fma_f64 v[112:113], v[112:113], v[46:47], -v[0:1]
	v_mul_f64 v[0:1], v[118:119], v[50:51]
	v_fma_f64 v[42:43], v[44:45], s[4:5], v[40:41]
	v_fma_f64 v[46:47], v[44:45], s[6:7], v[40:41]
	v_add_f64 v[44:45], v[84:85], v[92:93]
	v_add_f64 v[40:41], v[146:147], v[84:85]
	v_add_f64 v[78:79], v[108:109], -v[112:113]
	v_fma_f64 v[8:9], v[116:117], v[48:49], v[0:1]
	v_mul_f64 v[0:1], v[118:119], v[48:49]
	v_fma_f64 v[48:49], v[44:45], -0.5, v[146:147]
	v_add_f64 v[40:41], v[40:41], v[92:93]
	v_fma_f64 v[10:11], v[116:117], v[50:51], -v[0:1]
	v_mul_f64 v[0:1], v[134:135], v[54:55]
	v_add_f64 v[50:51], v[90:91], -v[86:87]
	v_add_f64 v[86:87], v[106:107], -v[110:111]
	v_fma_f64 v[12:13], v[132:133], v[52:53], v[0:1]
	v_mul_f64 v[0:1], v[134:135], v[52:53]
	v_add_f64 v[52:53], v[94:95], v[62:63]
	v_fma_f64 v[44:45], v[50:51], s[6:7], v[48:49]
	v_fma_f64 v[48:49], v[50:51], s[4:5], v[48:49]
	v_add_f64 v[50:51], v[128:129], v[94:95]
	v_fma_f64 v[114:115], v[132:133], v[54:55], -v[0:1]
	v_mul_f64 v[0:1], v[138:139], v[58:59]
	v_fma_f64 v[52:53], v[52:53], -0.5, v[128:129]
	v_add_f64 v[50:51], v[50:51], v[62:63]
	v_add_f64 v[62:63], v[94:95], -v[62:63]
	v_add_f64 v[90:91], v[10:11], -v[114:115]
	v_fma_f64 v[0:1], v[136:137], v[56:57], v[0:1]
	v_add_f64 v[56:57], v[60:61], -v[104:105]
	v_fma_f64 v[54:55], v[56:57], s[4:5], v[52:53]
	v_fma_f64 v[58:59], v[56:57], s[6:7], v[52:53]
	v_add_f64 v[56:57], v[60:61], v[104:105]
	v_add_f64 v[52:53], v[130:131], v[60:61]
	v_fma_f64 v[60:61], v[56:57], -0.5, v[130:131]
	v_add_f64 v[52:53], v[52:53], v[104:105]
	v_fma_f64 v[56:57], v[62:63], s[6:7], v[60:61]
	v_fma_f64 v[60:61], v[62:63], s[4:5], v[60:61]
	v_add_f64 v[62:63], v[124:125], v[106:107]
	v_add_f64 v[76:77], v[62:63], v[110:111]
	;; [unrolled: 1-line block ×3, first 2 shown]
	v_fma_f64 v[62:63], v[62:63], -0.5, v[124:125]
	v_fma_f64 v[80:81], v[78:79], s[4:5], v[62:63]
	v_fma_f64 v[84:85], v[78:79], s[6:7], v[62:63]
	v_add_f64 v[62:63], v[126:127], v[108:109]
	v_add_f64 v[78:79], v[62:63], v[112:113]
	v_add_f64 v[62:63], v[108:109], v[112:113]
	v_fma_f64 v[62:63], v[62:63], -0.5, v[126:127]
	v_fma_f64 v[82:83], v[86:87], s[6:7], v[62:63]
	v_fma_f64 v[86:87], v[86:87], s[4:5], v[62:63]
	v_add_f64 v[62:63], v[120:121], v[8:9]
	v_add_f64 v[88:89], v[62:63], v[12:13]
	;; [unrolled: 1-line block ×3, first 2 shown]
	v_add_f64 v[8:9], v[8:9], -v[12:13]
	v_add_f64 v[12:13], v[4:5], -v[6:7]
	v_fma_f64 v[62:63], v[62:63], -0.5, v[120:121]
	v_fma_f64 v[92:93], v[90:91], s[4:5], v[62:63]
	v_fma_f64 v[104:105], v[90:91], s[6:7], v[62:63]
	v_add_f64 v[62:63], v[122:123], v[10:11]
	v_add_f64 v[10:11], v[10:11], v[114:115]
	;; [unrolled: 1-line block ×3, first 2 shown]
	v_fma_f64 v[10:11], v[10:11], -0.5, v[122:123]
	v_fma_f64 v[94:95], v[8:9], s[6:7], v[10:11]
	v_fma_f64 v[106:107], v[8:9], s[4:5], v[10:11]
	v_add_f64 v[10:11], v[0:1], v[2:3]
	v_add_f64 v[8:9], v[100:101], v[0:1]
	v_add_f64 v[0:1], v[0:1], -v[2:3]
	v_fma_f64 v[10:11], v[10:11], -0.5, v[100:101]
	v_add_f64 v[8:9], v[8:9], v[2:3]
	v_fma_f64 v[98:99], v[12:13], s[4:5], v[10:11]
	v_fma_f64 v[108:109], v[12:13], s[6:7], v[10:11]
	v_add_f64 v[10:11], v[102:103], v[4:5]
	v_add_f64 v[4:5], v[4:5], v[6:7]
	;; [unrolled: 1-line block ×3, first 2 shown]
	v_fma_f64 v[4:5], v[4:5], -0.5, v[102:103]
	v_fma_f64 v[100:101], v[0:1], s[6:7], v[4:5]
	v_fma_f64 v[110:111], v[0:1], s[4:5], v[4:5]
	buffer_load_dword v0, off, s[36:39], 0 offset:996 ; 4-byte Folded Reload
	s_waitcnt vmcnt(0)
	ds_write_b128 v0, v[64:67]
	ds_write_b128 v0, v[72:75] offset:128
	ds_write_b128 v0, v[68:71] offset:256
	buffer_load_dword v0, off, s[36:39], 0 offset:1000 ; 4-byte Folded Reload
	s_waitcnt vmcnt(0)
	ds_write_b128 v0, v[14:17]
	ds_write_b128 v0, v[18:21] offset:128
	ds_write_b128 v0, v[22:25] offset:256
	;; [unrolled: 5-line block ×8, first 2 shown]
	s_waitcnt lgkmcnt(0)
	; wave barrier
	s_waitcnt lgkmcnt(0)
	ds_read_b128 v[4:7], v96
	ds_read_b128 v[0:3], v96 offset:8064
	ds_read_b128 v[8:11], v96 offset:16128
	;; [unrolled: 1-line block ×23, first 2 shown]
	buffer_load_dword v100, off, s[36:39], 0 offset:1028 ; 4-byte Folded Reload
	buffer_load_dword v101, off, s[36:39], 0 offset:1032 ; 4-byte Folded Reload
	;; [unrolled: 1-line block ×8, first 2 shown]
	s_waitcnt vmcnt(4) lgkmcnt(14)
	v_mul_f64 v[98:99], v[102:103], v[2:3]
	v_fma_f64 v[98:99], v[100:101], v[0:1], v[98:99]
	v_mul_f64 v[0:1], v[102:103], v[0:1]
	v_fma_f64 v[100:101], v[100:101], v[2:3], -v[0:1]
	s_waitcnt vmcnt(0)
	v_mul_f64 v[0:1], v[106:107], v[10:11]
	v_fma_f64 v[102:103], v[104:105], v[8:9], v[0:1]
	v_mul_f64 v[0:1], v[106:107], v[8:9]
	buffer_load_dword v106, off, s[36:39], 0 offset:1060 ; 4-byte Folded Reload
	buffer_load_dword v107, off, s[36:39], 0 offset:1064 ; 4-byte Folded Reload
	;; [unrolled: 1-line block ×4, first 2 shown]
	v_add_f64 v[2:3], v[98:99], v[102:103]
	v_fma_f64 v[10:11], v[104:105], v[10:11], -v[0:1]
	v_fma_f64 v[2:3], v[2:3], -0.5, v[4:5]
	s_waitcnt vmcnt(0)
	v_mul_f64 v[0:1], v[108:109], v[14:15]
	v_fma_f64 v[104:105], v[106:107], v[12:13], v[0:1]
	v_mul_f64 v[0:1], v[108:109], v[12:13]
	v_fma_f64 v[106:107], v[106:107], v[14:15], -v[0:1]
	buffer_load_dword v12, off, s[36:39], 0 offset:1076 ; 4-byte Folded Reload
	buffer_load_dword v13, off, s[36:39], 0 offset:1080 ; 4-byte Folded Reload
	;; [unrolled: 1-line block ×4, first 2 shown]
	s_waitcnt vmcnt(0)
	v_mul_f64 v[0:1], v[14:15], v[18:19]
	v_fma_f64 v[108:109], v[12:13], v[16:17], v[0:1]
	v_mul_f64 v[0:1], v[14:15], v[16:17]
	v_fma_f64 v[18:19], v[12:13], v[18:19], -v[0:1]
	buffer_load_dword v12, off, s[36:39], 0 offset:1092 ; 4-byte Folded Reload
	buffer_load_dword v13, off, s[36:39], 0 offset:1096 ; 4-byte Folded Reload
	;; [unrolled: 1-line block ×4, first 2 shown]
	v_add_f64 v[16:17], v[106:107], -v[18:19]
	s_waitcnt vmcnt(0)
	v_mul_f64 v[0:1], v[14:15], v[22:23]
	v_fma_f64 v[110:111], v[12:13], v[20:21], v[0:1]
	v_mul_f64 v[0:1], v[14:15], v[20:21]
	v_fma_f64 v[112:113], v[12:13], v[22:23], -v[0:1]
	buffer_load_dword v12, off, s[36:39], 0 offset:1108 ; 4-byte Folded Reload
	buffer_load_dword v13, off, s[36:39], 0 offset:1112 ; 4-byte Folded Reload
	buffer_load_dword v14, off, s[36:39], 0 offset:1116 ; 4-byte Folded Reload
	buffer_load_dword v15, off, s[36:39], 0 offset:1120 ; 4-byte Folded Reload
	s_waitcnt vmcnt(0)
	v_mul_f64 v[0:1], v[14:15], v[26:27]
	v_fma_f64 v[114:115], v[12:13], v[24:25], v[0:1]
	v_mul_f64 v[0:1], v[14:15], v[24:25]
	v_fma_f64 v[116:117], v[12:13], v[26:27], -v[0:1]
	buffer_load_dword v12, off, s[36:39], 0 offset:1124 ; 4-byte Folded Reload
	buffer_load_dword v13, off, s[36:39], 0 offset:1128 ; 4-byte Folded Reload
	buffer_load_dword v14, off, s[36:39], 0 offset:1132 ; 4-byte Folded Reload
	buffer_load_dword v15, off, s[36:39], 0 offset:1136 ; 4-byte Folded Reload
	s_waitcnt vmcnt(0) lgkmcnt(13)
	v_mul_f64 v[0:1], v[14:15], v[30:31]
	v_fma_f64 v[118:119], v[12:13], v[28:29], v[0:1]
	v_mul_f64 v[0:1], v[14:15], v[28:29]
	v_fma_f64 v[120:121], v[12:13], v[30:31], -v[0:1]
	buffer_load_dword v12, off, s[36:39], 0 offset:1140 ; 4-byte Folded Reload
	buffer_load_dword v13, off, s[36:39], 0 offset:1144 ; 4-byte Folded Reload
	buffer_load_dword v14, off, s[36:39], 0 offset:1148 ; 4-byte Folded Reload
	buffer_load_dword v15, off, s[36:39], 0 offset:1152 ; 4-byte Folded Reload
	s_waitcnt vmcnt(0) lgkmcnt(12)
	;; [unrolled: 9-line block ×4, first 2 shown]
	v_mul_f64 v[0:1], v[14:15], v[42:43]
	v_fma_f64 v[130:131], v[12:13], v[40:41], v[0:1]
	v_mul_f64 v[0:1], v[14:15], v[40:41]
	v_add_f64 v[40:41], v[104:105], -v[108:109]
	v_fma_f64 v[132:133], v[12:13], v[42:43], -v[0:1]
	buffer_load_dword v12, off, s[36:39], 0 offset:1188 ; 4-byte Folded Reload
	buffer_load_dword v13, off, s[36:39], 0 offset:1192 ; 4-byte Folded Reload
	;; [unrolled: 1-line block ×4, first 2 shown]
	v_add_f64 v[42:43], v[110:111], v[114:115]
	v_fma_f64 v[42:43], v[42:43], -0.5, v[84:85]
	s_waitcnt vmcnt(0) lgkmcnt(7)
	v_mul_f64 v[0:1], v[14:15], v[46:47]
	v_fma_f64 v[134:135], v[12:13], v[44:45], v[0:1]
	v_mul_f64 v[0:1], v[14:15], v[44:45]
	v_fma_f64 v[136:137], v[12:13], v[46:47], -v[0:1]
	buffer_load_dword v12, off, s[36:39], 0 offset:1204 ; 4-byte Folded Reload
	buffer_load_dword v13, off, s[36:39], 0 offset:1208 ; 4-byte Folded Reload
	;; [unrolled: 1-line block ×4, first 2 shown]
	v_add_f64 v[46:47], v[112:113], -v[116:117]
	v_fma_f64 v[44:45], v[46:47], s[4:5], v[42:43]
	s_waitcnt vmcnt(0) lgkmcnt(6)
	v_mul_f64 v[0:1], v[14:15], v[50:51]
	v_fma_f64 v[138:139], v[12:13], v[48:49], v[0:1]
	v_mul_f64 v[0:1], v[14:15], v[48:49]
	v_fma_f64 v[48:49], v[46:47], s[6:7], v[42:43]
	v_add_f64 v[46:47], v[112:113], v[116:117]
	v_add_f64 v[42:43], v[86:87], v[112:113]
	v_fma_f64 v[140:141], v[12:13], v[50:51], -v[0:1]
	buffer_load_dword v12, off, s[36:39], 0 offset:1220 ; 4-byte Folded Reload
	buffer_load_dword v13, off, s[36:39], 0 offset:1224 ; 4-byte Folded Reload
	;; [unrolled: 1-line block ×4, first 2 shown]
	v_fma_f64 v[50:51], v[46:47], -0.5, v[86:87]
	v_add_f64 v[86:87], v[128:129], v[132:133]
	v_add_f64 v[42:43], v[42:43], v[116:117]
	v_fma_f64 v[86:87], v[86:87], -0.5, v[78:79]
	s_waitcnt vmcnt(0) lgkmcnt(4)
	v_mul_f64 v[0:1], v[14:15], v[54:55]
	v_fma_f64 v[32:33], v[12:13], v[52:53], v[0:1]
	v_mul_f64 v[0:1], v[14:15], v[52:53]
	v_add_f64 v[52:53], v[110:111], -v[114:115]
	v_fma_f64 v[34:35], v[12:13], v[54:55], -v[0:1]
	buffer_load_dword v12, off, s[36:39], 0 offset:1236 ; 4-byte Folded Reload
	buffer_load_dword v13, off, s[36:39], 0 offset:1240 ; 4-byte Folded Reload
	;; [unrolled: 1-line block ×4, first 2 shown]
	v_add_f64 v[54:55], v[118:119], v[122:123]
	v_fma_f64 v[46:47], v[52:53], s[6:7], v[50:51]
	v_fma_f64 v[50:51], v[52:53], s[4:5], v[50:51]
	v_add_f64 v[52:53], v[80:81], v[118:119]
	v_fma_f64 v[54:55], v[54:55], -0.5, v[80:81]
	v_add_f64 v[80:81], v[118:119], -v[122:123]
	v_add_f64 v[52:53], v[52:53], v[122:123]
	s_waitcnt vmcnt(0) lgkmcnt(3)
	v_mul_f64 v[0:1], v[14:15], v[58:59]
	v_fma_f64 v[36:37], v[12:13], v[56:57], v[0:1]
	v_mul_f64 v[0:1], v[14:15], v[56:57]
	v_fma_f64 v[38:39], v[12:13], v[58:59], -v[0:1]
	buffer_load_dword v12, off, s[36:39], 0 offset:1252 ; 4-byte Folded Reload
	buffer_load_dword v13, off, s[36:39], 0 offset:1256 ; 4-byte Folded Reload
	;; [unrolled: 1-line block ×4, first 2 shown]
	v_add_f64 v[58:59], v[120:121], -v[124:125]
	v_fma_f64 v[56:57], v[58:59], s[4:5], v[54:55]
	s_waitcnt vmcnt(0) lgkmcnt(1)
	v_mul_f64 v[0:1], v[14:15], v[62:63]
	v_fma_f64 v[24:25], v[12:13], v[60:61], v[0:1]
	v_mul_f64 v[0:1], v[14:15], v[60:61]
	v_fma_f64 v[60:61], v[58:59], s[6:7], v[54:55]
	v_add_f64 v[58:59], v[120:121], v[124:125]
	v_add_f64 v[54:55], v[82:83], v[120:121]
	v_fma_f64 v[28:29], v[12:13], v[62:63], -v[0:1]
	buffer_load_dword v12, off, s[36:39], 0 offset:1268 ; 4-byte Folded Reload
	buffer_load_dword v13, off, s[36:39], 0 offset:1272 ; 4-byte Folded Reload
	;; [unrolled: 1-line block ×4, first 2 shown]
	v_fma_f64 v[62:63], v[58:59], -0.5, v[82:83]
	v_add_f64 v[82:83], v[126:127], v[130:131]
	s_waitcnt lgkmcnt(0)
	; wave barrier
	s_waitcnt lgkmcnt(0)
	v_add_f64 v[54:55], v[54:55], v[124:125]
	v_fma_f64 v[58:59], v[80:81], s[6:7], v[62:63]
	v_fma_f64 v[82:83], v[82:83], -0.5, v[76:77]
	v_fma_f64 v[62:63], v[80:81], s[4:5], v[62:63]
	v_add_f64 v[80:81], v[76:77], v[126:127]
	v_add_f64 v[80:81], v[80:81], v[130:131]
	s_waitcnt vmcnt(0)
	v_mul_f64 v[0:1], v[14:15], v[94:95]
	v_fma_f64 v[26:27], v[12:13], v[92:93], v[0:1]
	v_mul_f64 v[0:1], v[14:15], v[92:93]
	v_add_f64 v[14:15], v[104:105], v[108:109]
	v_add_f64 v[92:93], v[136:137], -v[140:141]
	v_fma_f64 v[30:31], v[12:13], v[94:95], -v[0:1]
	v_add_f64 v[0:1], v[4:5], v[98:99]
	v_add_f64 v[4:5], v[100:101], -v[10:11]
	v_fma_f64 v[14:15], v[14:15], -0.5, v[88:89]
	v_add_f64 v[12:13], v[98:99], -v[102:103]
	v_add_f64 v[94:95], v[136:137], v[140:141]
	v_add_f64 v[98:99], v[134:135], -v[138:139]
	v_add_f64 v[0:1], v[0:1], v[102:103]
	v_fma_f64 v[8:9], v[4:5], s[4:5], v[2:3]
	v_fma_f64 v[4:5], v[4:5], s[6:7], v[2:3]
	v_add_f64 v[2:3], v[6:7], v[100:101]
	v_fma_f64 v[20:21], v[16:17], s[4:5], v[14:15]
	v_fma_f64 v[16:17], v[16:17], s[6:7], v[14:15]
	v_add_f64 v[14:15], v[90:91], v[106:107]
	v_fma_f64 v[94:95], v[94:95], -0.5, v[74:75]
	v_add_f64 v[102:103], v[34:35], -v[38:39]
	v_add_f64 v[2:3], v[2:3], v[10:11]
	v_add_f64 v[10:11], v[100:101], v[10:11]
	;; [unrolled: 1-line block ×5, first 2 shown]
	v_fma_f64 v[6:7], v[10:11], -0.5, v[6:7]
	v_fma_f64 v[100:101], v[100:101], -0.5, v[68:69]
	;; [unrolled: 1-line block ×3, first 2 shown]
	v_add_f64 v[90:91], v[134:135], v[138:139]
	v_fma_f64 v[10:11], v[12:13], s[6:7], v[6:7]
	v_fma_f64 v[6:7], v[12:13], s[4:5], v[6:7]
	v_add_f64 v[12:13], v[88:89], v[104:105]
	v_fma_f64 v[22:23], v[40:41], s[6:7], v[18:19]
	v_fma_f64 v[18:19], v[40:41], s[4:5], v[18:19]
	v_add_f64 v[40:41], v[84:85], v[110:111]
	v_add_f64 v[84:85], v[128:129], -v[132:133]
	v_add_f64 v[88:89], v[126:127], -v[130:131]
	v_fma_f64 v[90:91], v[90:91], -0.5, v[72:73]
	v_add_f64 v[12:13], v[12:13], v[108:109]
	v_add_f64 v[40:41], v[40:41], v[114:115]
	v_fma_f64 v[76:77], v[84:85], s[4:5], v[82:83]
	v_fma_f64 v[84:85], v[84:85], s[6:7], v[82:83]
	v_add_f64 v[82:83], v[78:79], v[128:129]
	v_fma_f64 v[78:79], v[88:89], s[6:7], v[86:87]
	v_fma_f64 v[86:87], v[88:89], s[4:5], v[86:87]
	;; [unrolled: 3-line block ×5, first 2 shown]
	v_add_f64 v[100:101], v[70:71], v[34:35]
	v_add_f64 v[34:35], v[34:35], v[38:39]
	v_add_f64 v[32:33], v[32:33], -v[36:37]
	v_add_f64 v[82:83], v[82:83], v[132:133]
	v_add_f64 v[88:89], v[88:89], v[138:139]
	v_add_f64 v[98:99], v[98:99], v[36:37]
	v_add_f64 v[90:91], v[90:91], v[140:141]
	v_add_f64 v[100:101], v[100:101], v[38:39]
	v_fma_f64 v[34:35], v[34:35], -0.5, v[70:71]
	v_add_f64 v[38:39], v[28:29], -v[30:31]
	v_fma_f64 v[70:71], v[32:33], s[6:7], v[34:35]
	v_fma_f64 v[104:105], v[32:33], s[4:5], v[34:35]
	v_add_f64 v[34:35], v[24:25], v[26:27]
	v_add_f64 v[32:33], v[64:65], v[24:25]
	v_add_f64 v[24:25], v[24:25], -v[26:27]
	v_fma_f64 v[34:35], v[34:35], -0.5, v[64:65]
	v_add_f64 v[32:33], v[32:33], v[26:27]
	v_fma_f64 v[36:37], v[38:39], s[4:5], v[34:35]
	v_fma_f64 v[64:65], v[38:39], s[6:7], v[34:35]
	v_add_f64 v[34:35], v[66:67], v[28:29]
	v_add_f64 v[28:29], v[28:29], v[30:31]
	;; [unrolled: 1-line block ×3, first 2 shown]
	v_fma_f64 v[28:29], v[28:29], -0.5, v[66:67]
	v_fma_f64 v[38:39], v[24:25], s[6:7], v[28:29]
	v_fma_f64 v[66:67], v[24:25], s[4:5], v[28:29]
	buffer_load_dword v24, off, s[36:39], 0 offset:612 ; 4-byte Folded Reload
	s_waitcnt vmcnt(0)
	ds_write_b128 v24, v[0:3]
	ds_write_b128 v24, v[8:11] offset:384
	ds_write_b128 v24, v[4:7] offset:768
	buffer_load_dword v0, off, s[36:39], 0 offset:632 ; 4-byte Folded Reload
	s_waitcnt vmcnt(0)
	ds_write_b128 v0, v[12:15]
	ds_write_b128 v0, v[20:23] offset:384
	ds_write_b128 v0, v[16:19] offset:768
	;; [unrolled: 5-line block ×8, first 2 shown]
	s_waitcnt lgkmcnt(0)
	; wave barrier
	s_waitcnt lgkmcnt(0)
	ds_read_b128 v[24:27], v96
	ds_read_b128 v[20:23], v96 offset:8064
	ds_read_b128 v[28:31], v96 offset:16128
	;; [unrolled: 1-line block ×23, first 2 shown]
	buffer_load_dword v100, off, s[36:39], 0 offset:680 ; 4-byte Folded Reload
	buffer_load_dword v101, off, s[36:39], 0 offset:684 ; 4-byte Folded Reload
	buffer_load_dword v102, off, s[36:39], 0 offset:688 ; 4-byte Folded Reload
	buffer_load_dword v103, off, s[36:39], 0 offset:692 ; 4-byte Folded Reload
	buffer_load_dword v104, off, s[36:39], 0 offset:740 ; 4-byte Folded Reload
	buffer_load_dword v105, off, s[36:39], 0 offset:744 ; 4-byte Folded Reload
	buffer_load_dword v106, off, s[36:39], 0 offset:748 ; 4-byte Folded Reload
	buffer_load_dword v107, off, s[36:39], 0 offset:752 ; 4-byte Folded Reload
	s_waitcnt vmcnt(4) lgkmcnt(14)
	v_mul_f64 v[98:99], v[102:103], v[22:23]
	v_fma_f64 v[98:99], v[100:101], v[20:21], v[98:99]
	v_mul_f64 v[20:21], v[102:103], v[20:21]
	v_fma_f64 v[100:101], v[100:101], v[22:23], -v[20:21]
	s_waitcnt vmcnt(0)
	v_mul_f64 v[20:21], v[106:107], v[30:31]
	v_fma_f64 v[102:103], v[104:105], v[28:29], v[20:21]
	v_mul_f64 v[20:21], v[106:107], v[28:29]
	buffer_load_dword v106, off, s[36:39], 0 offset:756 ; 4-byte Folded Reload
	buffer_load_dword v107, off, s[36:39], 0 offset:760 ; 4-byte Folded Reload
	;; [unrolled: 1-line block ×4, first 2 shown]
	v_add_f64 v[22:23], v[98:99], v[102:103]
	v_fma_f64 v[30:31], v[104:105], v[30:31], -v[20:21]
	v_fma_f64 v[22:23], v[22:23], -0.5, v[24:25]
	s_waitcnt vmcnt(0)
	v_mul_f64 v[20:21], v[108:109], v[38:39]
	v_fma_f64 v[104:105], v[106:107], v[36:37], v[20:21]
	v_mul_f64 v[20:21], v[108:109], v[36:37]
	v_fma_f64 v[106:107], v[106:107], v[38:39], -v[20:21]
	buffer_load_dword v36, off, s[36:39], 0 offset:788 ; 4-byte Folded Reload
	buffer_load_dword v37, off, s[36:39], 0 offset:792 ; 4-byte Folded Reload
	buffer_load_dword v38, off, s[36:39], 0 offset:796 ; 4-byte Folded Reload
	buffer_load_dword v39, off, s[36:39], 0 offset:800 ; 4-byte Folded Reload
	s_waitcnt vmcnt(0)
	v_mul_f64 v[20:21], v[38:39], v[46:47]
	v_fma_f64 v[108:109], v[36:37], v[44:45], v[20:21]
	v_mul_f64 v[20:21], v[38:39], v[44:45]
	v_fma_f64 v[46:47], v[36:37], v[46:47], -v[20:21]
	buffer_load_dword v36, off, s[36:39], 0 offset:804 ; 4-byte Folded Reload
	buffer_load_dword v37, off, s[36:39], 0 offset:808 ; 4-byte Folded Reload
	buffer_load_dword v38, off, s[36:39], 0 offset:812 ; 4-byte Folded Reload
	buffer_load_dword v39, off, s[36:39], 0 offset:816 ; 4-byte Folded Reload
	;; [unrolled: 9-line block ×4, first 2 shown]
	s_waitcnt vmcnt(0) lgkmcnt(13)
	v_mul_f64 v[20:21], v[38:39], v[58:59]
	v_fma_f64 v[118:119], v[36:37], v[56:57], v[20:21]
	v_mul_f64 v[20:21], v[38:39], v[56:57]
	v_fma_f64 v[120:121], v[36:37], v[58:59], -v[20:21]
	buffer_load_dword v36, off, s[36:39], 0 offset:852 ; 4-byte Folded Reload
	buffer_load_dword v37, off, s[36:39], 0 offset:856 ; 4-byte Folded Reload
	;; [unrolled: 1-line block ×4, first 2 shown]
	s_waitcnt vmcnt(0) lgkmcnt(12)
	v_mul_f64 v[20:21], v[38:39], v[62:63]
	v_fma_f64 v[122:123], v[36:37], v[60:61], v[20:21]
	v_mul_f64 v[20:21], v[38:39], v[60:61]
	v_fma_f64 v[124:125], v[36:37], v[62:63], -v[20:21]
	buffer_load_dword v36, off, s[36:39], 0 offset:868 ; 4-byte Folded Reload
	buffer_load_dword v37, off, s[36:39], 0 offset:872 ; 4-byte Folded Reload
	;; [unrolled: 1-line block ×4, first 2 shown]
	s_waitcnt vmcnt(0) lgkmcnt(10)
	v_mul_f64 v[20:21], v[38:39], v[66:67]
	v_fma_f64 v[126:127], v[36:37], v[64:65], v[20:21]
	v_mul_f64 v[20:21], v[38:39], v[64:65]
	v_add_f64 v[64:65], v[104:105], -v[108:109]
	v_fma_f64 v[128:129], v[36:37], v[66:67], -v[20:21]
	buffer_load_dword v36, off, s[36:39], 0 offset:884 ; 4-byte Folded Reload
	buffer_load_dword v37, off, s[36:39], 0 offset:888 ; 4-byte Folded Reload
	buffer_load_dword v38, off, s[36:39], 0 offset:892 ; 4-byte Folded Reload
	buffer_load_dword v39, off, s[36:39], 0 offset:896 ; 4-byte Folded Reload
	v_add_f64 v[66:67], v[110:111], v[114:115]
	v_fma_f64 v[66:67], v[66:67], -0.5, v[32:33]
	s_waitcnt vmcnt(0) lgkmcnt(9)
	v_mul_f64 v[20:21], v[38:39], v[70:71]
	v_fma_f64 v[130:131], v[36:37], v[68:69], v[20:21]
	v_mul_f64 v[20:21], v[38:39], v[68:69]
	v_add_f64 v[68:69], v[112:113], -v[116:117]
	v_fma_f64 v[132:133], v[36:37], v[70:71], -v[20:21]
	buffer_load_dword v36, off, s[36:39], 0 offset:900 ; 4-byte Folded Reload
	buffer_load_dword v37, off, s[36:39], 0 offset:904 ; 4-byte Folded Reload
	buffer_load_dword v38, off, s[36:39], 0 offset:908 ; 4-byte Folded Reload
	buffer_load_dword v39, off, s[36:39], 0 offset:912 ; 4-byte Folded Reload
	v_add_f64 v[70:71], v[112:113], v[116:117]
	v_fma_f64 v[70:71], v[70:71], -0.5, v[34:35]
	;; [unrolled: 12-line block ×6, first 2 shown]
	s_waitcnt vmcnt(0) lgkmcnt(1)
	v_mul_f64 v[20:21], v[38:39], v[90:91]
	v_fma_f64 v[48:49], v[36:37], v[88:89], v[20:21]
	v_mul_f64 v[20:21], v[38:39], v[88:89]
	v_add_f64 v[88:89], v[126:127], -v[130:131]
	v_fma_f64 v[52:53], v[36:37], v[90:91], -v[20:21]
	buffer_load_dword v36, off, s[36:39], 0 offset:980 ; 4-byte Folded Reload
	buffer_load_dword v37, off, s[36:39], 0 offset:984 ; 4-byte Folded Reload
	;; [unrolled: 1-line block ×4, first 2 shown]
	s_waitcnt lgkmcnt(0)
	; wave barrier
	s_waitcnt lgkmcnt(0)
	v_add_f64 v[90:91], v[134:135], v[138:139]
	s_waitcnt vmcnt(0)
	v_mul_f64 v[20:21], v[38:39], v[94:95]
	v_fma_f64 v[50:51], v[36:37], v[92:93], v[20:21]
	v_mul_f64 v[20:21], v[38:39], v[92:93]
	v_add_f64 v[38:39], v[104:105], v[108:109]
	v_fma_f64 v[54:55], v[36:37], v[94:95], -v[20:21]
	v_add_f64 v[20:21], v[24:25], v[98:99]
	v_add_f64 v[24:25], v[100:101], -v[30:31]
	v_add_f64 v[36:37], v[98:99], -v[102:103]
	v_fma_f64 v[38:39], v[38:39], -0.5, v[40:41]
	v_add_f64 v[20:21], v[20:21], v[102:103]
	v_fma_f64 v[28:29], v[24:25], s[4:5], v[22:23]
	v_fma_f64 v[24:25], v[24:25], s[6:7], v[22:23]
	v_add_f64 v[22:23], v[26:27], v[100:101]
	v_add_f64 v[22:23], v[22:23], v[30:31]
	;; [unrolled: 1-line block ×3, first 2 shown]
	v_fma_f64 v[26:27], v[30:31], -0.5, v[26:27]
	v_fma_f64 v[30:31], v[36:37], s[6:7], v[26:27]
	v_fma_f64 v[26:27], v[36:37], s[4:5], v[26:27]
	ds_write_b128 v96, v[20:23]
	ds_write_b128 v96, v[28:31] offset:1152
	ds_write_b128 v96, v[24:27] offset:2304
	buffer_load_dword v20, off, s[36:39], 0 offset:392 ; 4-byte Folded Reload
	v_add_f64 v[36:37], v[40:41], v[104:105]
	v_add_f64 v[40:41], v[106:107], -v[46:47]
	v_add_f64 v[36:37], v[36:37], v[108:109]
	v_fma_f64 v[44:45], v[40:41], s[4:5], v[38:39]
	v_fma_f64 v[40:41], v[40:41], s[6:7], v[38:39]
	v_add_f64 v[38:39], v[42:43], v[106:107]
	v_add_f64 v[38:39], v[38:39], v[46:47]
	;; [unrolled: 1-line block ×3, first 2 shown]
	v_fma_f64 v[42:43], v[46:47], -0.5, v[42:43]
	v_fma_f64 v[46:47], v[64:65], s[6:7], v[42:43]
	v_fma_f64 v[42:43], v[64:65], s[4:5], v[42:43]
	s_waitcnt vmcnt(0)
	ds_write_b128 v20, v[36:39]
	ds_write_b128 v20, v[44:47] offset:1152
	ds_write_b128 v20, v[40:43] offset:2304
	buffer_load_dword v20, off, s[36:39], 0 offset:396 ; 4-byte Folded Reload
	v_add_f64 v[64:65], v[32:33], v[110:111]
	v_fma_f64 v[32:33], v[68:69], s[4:5], v[66:67]
	v_fma_f64 v[68:69], v[68:69], s[6:7], v[66:67]
	v_add_f64 v[66:67], v[34:35], v[112:113]
	v_fma_f64 v[34:35], v[72:73], s[6:7], v[70:71]
	v_fma_f64 v[70:71], v[72:73], s[4:5], v[70:71]
	v_add_f64 v[72:73], v[16:17], v[118:119]
	v_fma_f64 v[16:17], v[76:77], s[4:5], v[74:75]
	v_add_f64 v[64:65], v[64:65], v[114:115]
	;; [unrolled: 2-line block ×3, first 2 shown]
	v_add_f64 v[66:67], v[66:67], v[116:117]
	s_waitcnt vmcnt(0)
	ds_write_b128 v20, v[64:67]
	ds_write_b128 v20, v[32:35] offset:1152
	ds_write_b128 v20, v[68:71] offset:2304
	buffer_load_dword v20, off, s[36:39], 0 offset:400 ; 4-byte Folded Reload
	v_add_f64 v[72:73], v[72:73], v[122:123]
	v_add_f64 v[74:75], v[74:75], v[124:125]
	v_fma_f64 v[18:19], v[80:81], s[6:7], v[78:79]
	v_fma_f64 v[78:79], v[80:81], s[4:5], v[78:79]
	s_waitcnt vmcnt(0)
	ds_write_b128 v20, v[72:75]
	ds_write_b128 v20, v[16:19] offset:1152
	ds_write_b128 v20, v[76:79] offset:2304
	buffer_load_dword v16, off, s[36:39], 0 offset:420 ; 4-byte Folded Reload
	v_add_f64 v[80:81], v[12:13], v[126:127]
	v_fma_f64 v[12:13], v[84:85], s[4:5], v[82:83]
	v_fma_f64 v[84:85], v[84:85], s[6:7], v[82:83]
	v_add_f64 v[82:83], v[14:15], v[128:129]
	v_fma_f64 v[14:15], v[88:89], s[6:7], v[86:87]
	v_fma_f64 v[86:87], v[88:89], s[4:5], v[86:87]
	v_add_f64 v[88:89], v[8:9], v[134:135]
	v_fma_f64 v[8:9], v[90:91], -0.5, v[8:9]
	v_add_f64 v[80:81], v[80:81], v[130:131]
	v_add_f64 v[90:91], v[136:137], -v[140:141]
	v_add_f64 v[82:83], v[82:83], v[132:133]
	s_waitcnt vmcnt(0)
	ds_write_b128 v16, v[80:83]
	ds_write_b128 v16, v[12:15] offset:1152
	ds_write_b128 v16, v[84:87] offset:2304
	buffer_load_dword v12, off, s[36:39], 0 offset:424 ; 4-byte Folded Reload
	v_fma_f64 v[92:93], v[90:91], s[4:5], v[8:9]
	v_fma_f64 v[98:99], v[90:91], s[6:7], v[8:9]
	v_add_f64 v[8:9], v[10:11], v[136:137]
	v_add_f64 v[88:89], v[88:89], v[138:139]
	;; [unrolled: 1-line block ×4, first 2 shown]
	v_fma_f64 v[8:9], v[8:9], -0.5, v[10:11]
	v_add_f64 v[10:11], v[134:135], -v[138:139]
	v_fma_f64 v[94:95], v[10:11], s[6:7], v[8:9]
	v_fma_f64 v[100:101], v[10:11], s[4:5], v[8:9]
	s_waitcnt vmcnt(0)
	ds_write_b128 v12, v[88:91]
	ds_write_b128 v12, v[92:95] offset:1152
	ds_write_b128 v12, v[98:101] offset:2304
	buffer_load_dword v12, off, s[36:39], 0 offset:428 ; 4-byte Folded Reload
	v_add_f64 v[8:9], v[0:1], v[56:57]
	v_add_f64 v[10:11], v[52:53], v[54:55]
	;; [unrolled: 1-line block ×4, first 2 shown]
	v_fma_f64 v[10:11], v[10:11], -0.5, v[6:7]
	v_fma_f64 v[0:1], v[8:9], -0.5, v[0:1]
	v_add_f64 v[8:9], v[58:59], -v[62:63]
	v_fma_f64 v[106:107], v[8:9], s[4:5], v[0:1]
	v_fma_f64 v[110:111], v[8:9], s[6:7], v[0:1]
	v_add_f64 v[0:1], v[2:3], v[58:59]
	v_add_f64 v[8:9], v[52:53], -v[54:55]
	v_add_f64 v[104:105], v[0:1], v[62:63]
	v_add_f64 v[0:1], v[58:59], v[62:63]
	v_fma_f64 v[0:1], v[0:1], -0.5, v[2:3]
	v_add_f64 v[2:3], v[56:57], -v[60:61]
	v_fma_f64 v[108:109], v[2:3], s[6:7], v[0:1]
	v_fma_f64 v[112:113], v[2:3], s[4:5], v[0:1]
	s_waitcnt vmcnt(0)
	ds_write_b128 v12, v[102:105]
	ds_write_b128 v12, v[106:109] offset:1152
	ds_write_b128 v12, v[110:113] offset:2304
	buffer_load_dword v12, off, s[36:39], 0 offset:432 ; 4-byte Folded Reload
	v_add_f64 v[2:3], v[48:49], v[50:51]
	v_add_f64 v[0:1], v[4:5], v[48:49]
	v_add_f64 v[48:49], v[48:49], -v[50:51]
	v_fma_f64 v[2:3], v[2:3], -0.5, v[4:5]
	v_add_f64 v[0:1], v[0:1], v[50:51]
	v_fma_f64 v[4:5], v[8:9], s[4:5], v[2:3]
	v_fma_f64 v[8:9], v[8:9], s[6:7], v[2:3]
	v_add_f64 v[2:3], v[6:7], v[52:53]
	v_fma_f64 v[6:7], v[48:49], s[6:7], v[10:11]
	v_fma_f64 v[10:11], v[48:49], s[4:5], v[10:11]
	v_add_f64 v[2:3], v[2:3], v[54:55]
	s_waitcnt vmcnt(0)
	ds_write_b128 v12, v[0:3] offset:20736
	ds_write_b128 v12, v[4:7] offset:21888
	;; [unrolled: 1-line block ×3, first 2 shown]
	s_waitcnt lgkmcnt(0)
	; wave barrier
	s_waitcnt lgkmcnt(0)
	ds_read_b128 v[20:23], v96
	ds_read_b128 v[92:95], v96 offset:3456
	ds_read_b128 v[88:91], v96 offset:6912
	;; [unrolled: 1-line block ×20, first 2 shown]
	s_and_saveexec_b64 s[4:5], s[0:1]
	s_cbranch_execz .LBB0_7
; %bb.6:
	ds_read_b128 v[0:3], v96 offset:3024
	ds_read_b128 v[4:7], v96 offset:6480
	;; [unrolled: 1-line block ×7, first 2 shown]
.LBB0_7:
	s_or_b64 exec, exec, s[4:5]
	buffer_load_dword v100, off, s[36:39], 0 offset:500 ; 4-byte Folded Reload
	buffer_load_dword v101, off, s[36:39], 0 offset:504 ; 4-byte Folded Reload
	;; [unrolled: 1-line block ×4, first 2 shown]
	s_mov_b32 s6, 0x36b3c0b5
	s_mov_b32 s16, 0xe976ee23
	;; [unrolled: 1-line block ×20, first 2 shown]
	s_waitcnt vmcnt(0) lgkmcnt(14)
	v_mul_f64 v[98:99], v[102:103], v[94:95]
	v_fma_f64 v[98:99], v[100:101], v[92:93], v[98:99]
	v_mul_f64 v[92:93], v[102:103], v[92:93]
	v_fma_f64 v[92:93], v[100:101], v[94:95], -v[92:93]
	buffer_load_dword v100, off, s[36:39], 0 offset:484 ; 4-byte Folded Reload
	buffer_load_dword v101, off, s[36:39], 0 offset:488 ; 4-byte Folded Reload
	buffer_load_dword v102, off, s[36:39], 0 offset:492 ; 4-byte Folded Reload
	buffer_load_dword v103, off, s[36:39], 0 offset:496 ; 4-byte Folded Reload
	s_waitcnt vmcnt(0)
	v_mul_f64 v[94:95], v[102:103], v[90:91]
	v_fma_f64 v[94:95], v[100:101], v[88:89], v[94:95]
	v_mul_f64 v[88:89], v[102:103], v[88:89]
	v_fma_f64 v[88:89], v[100:101], v[90:91], -v[88:89]
	buffer_load_dword v100, off, s[36:39], 0 offset:452 ; 4-byte Folded Reload
	buffer_load_dword v101, off, s[36:39], 0 offset:456 ; 4-byte Folded Reload
	buffer_load_dword v102, off, s[36:39], 0 offset:460 ; 4-byte Folded Reload
	buffer_load_dword v103, off, s[36:39], 0 offset:464 ; 4-byte Folded Reload
	s_waitcnt vmcnt(0)
	;; [unrolled: 9-line block ×5, first 2 shown]
	v_mul_f64 v[78:79], v[102:103], v[70:71]
	v_fma_f64 v[78:79], v[100:101], v[68:69], v[78:79]
	v_mul_f64 v[68:69], v[102:103], v[68:69]
	v_fma_f64 v[68:69], v[100:101], v[70:71], -v[68:69]
	buffer_load_dword v100, off, s[36:39], 0 offset:580 ; 4-byte Folded Reload
	buffer_load_dword v101, off, s[36:39], 0 offset:584 ; 4-byte Folded Reload
	buffer_load_dword v102, off, s[36:39], 0 offset:588 ; 4-byte Folded Reload
	buffer_load_dword v103, off, s[36:39], 0 offset:592 ; 4-byte Folded Reload
	s_waitcnt vmcnt(0) lgkmcnt(12)
	v_mul_f64 v[70:71], v[102:103], v[74:75]
	v_fma_f64 v[70:71], v[100:101], v[72:73], v[70:71]
	v_mul_f64 v[72:73], v[102:103], v[72:73]
	v_fma_f64 v[72:73], v[100:101], v[74:75], -v[72:73]
	buffer_load_dword v100, off, s[36:39], 0 offset:564 ; 4-byte Folded Reload
	buffer_load_dword v101, off, s[36:39], 0 offset:568 ; 4-byte Folded Reload
	buffer_load_dword v102, off, s[36:39], 0 offset:572 ; 4-byte Folded Reload
	buffer_load_dword v103, off, s[36:39], 0 offset:576 ; 4-byte Folded Reload
	s_waitcnt vmcnt(0) lgkmcnt(11)
	v_mul_f64 v[74:75], v[102:103], v[66:67]
	v_fma_f64 v[74:75], v[100:101], v[64:65], v[74:75]
	v_mul_f64 v[64:65], v[102:103], v[64:65]
	v_fma_f64 v[64:65], v[100:101], v[66:67], -v[64:65]
	buffer_load_dword v100, off, s[36:39], 0 offset:532 ; 4-byte Folded Reload
	buffer_load_dword v101, off, s[36:39], 0 offset:536 ; 4-byte Folded Reload
	buffer_load_dword v102, off, s[36:39], 0 offset:540 ; 4-byte Folded Reload
	buffer_load_dword v103, off, s[36:39], 0 offset:544 ; 4-byte Folded Reload
	s_waitcnt vmcnt(0) lgkmcnt(10)
	v_mul_f64 v[66:67], v[102:103], v[62:63]
	v_fma_f64 v[66:67], v[100:101], v[60:61], v[66:67]
	v_mul_f64 v[60:61], v[102:103], v[60:61]
	v_fma_f64 v[60:61], v[100:101], v[62:63], -v[60:61]
	buffer_load_dword v100, off, s[36:39], 0 offset:516 ; 4-byte Folded Reload
	buffer_load_dword v101, off, s[36:39], 0 offset:520 ; 4-byte Folded Reload
	buffer_load_dword v102, off, s[36:39], 0 offset:524 ; 4-byte Folded Reload
	buffer_load_dword v103, off, s[36:39], 0 offset:528 ; 4-byte Folded Reload
	s_waitcnt vmcnt(0) lgkmcnt(9)
	v_mul_f64 v[62:63], v[102:103], v[58:59]
	v_fma_f64 v[62:63], v[100:101], v[56:57], v[62:63]
	v_mul_f64 v[56:57], v[102:103], v[56:57]
	v_fma_f64 v[56:57], v[100:101], v[58:59], -v[56:57]
	buffer_load_dword v100, off, s[36:39], 0 offset:636 ; 4-byte Folded Reload
	buffer_load_dword v101, off, s[36:39], 0 offset:640 ; 4-byte Folded Reload
	buffer_load_dword v102, off, s[36:39], 0 offset:644 ; 4-byte Folded Reload
	buffer_load_dword v103, off, s[36:39], 0 offset:648 ; 4-byte Folded Reload
	s_waitcnt vmcnt(0) lgkmcnt(8)
	v_mul_f64 v[58:59], v[102:103], v[54:55]
	v_fma_f64 v[58:59], v[100:101], v[52:53], v[58:59]
	v_mul_f64 v[52:53], v[102:103], v[52:53]
	v_fma_f64 v[52:53], v[100:101], v[54:55], -v[52:53]
	buffer_load_dword v100, off, s[36:39], 0 offset:548 ; 4-byte Folded Reload
	buffer_load_dword v101, off, s[36:39], 0 offset:552 ; 4-byte Folded Reload
	buffer_load_dword v102, off, s[36:39], 0 offset:556 ; 4-byte Folded Reload
	buffer_load_dword v103, off, s[36:39], 0 offset:560 ; 4-byte Folded Reload
	s_waitcnt vmcnt(0) lgkmcnt(7)
	v_mul_f64 v[54:55], v[102:103], v[50:51]
	v_fma_f64 v[54:55], v[100:101], v[48:49], v[54:55]
	v_mul_f64 v[48:49], v[102:103], v[48:49]
	buffer_load_dword v102, off, s[36:39], 0 offset:772 ; 4-byte Folded Reload
	buffer_load_dword v103, off, s[36:39], 0 offset:776 ; 4-byte Folded Reload
	;; [unrolled: 1-line block ×8, first 2 shown]
	v_fma_f64 v[48:49], v[100:101], v[50:51], -v[48:49]
	s_waitcnt vmcnt(4) lgkmcnt(5)
	v_mul_f64 v[50:51], v[104:105], v[46:47]
	v_fma_f64 v[100:101], v[102:103], v[44:45], v[50:51]
	v_mul_f64 v[44:45], v[104:105], v[44:45]
	v_fma_f64 v[102:103], v[102:103], v[46:47], -v[44:45]
	s_waitcnt vmcnt(0) lgkmcnt(4)
	v_mul_f64 v[44:45], v[108:109], v[42:43]
	v_add_f64 v[46:47], v[80:81], -v[84:85]
	v_fma_f64 v[104:105], v[106:107], v[40:41], v[44:45]
	v_mul_f64 v[40:41], v[108:109], v[40:41]
	v_fma_f64 v[106:107], v[106:107], v[42:43], -v[40:41]
	buffer_load_dword v42, off, s[36:39], 0 offset:616 ; 4-byte Folded Reload
	buffer_load_dword v43, off, s[36:39], 0 offset:620 ; 4-byte Folded Reload
	buffer_load_dword v44, off, s[36:39], 0 offset:624 ; 4-byte Folded Reload
	buffer_load_dword v45, off, s[36:39], 0 offset:628 ; 4-byte Folded Reload
	s_waitcnt vmcnt(0) lgkmcnt(3)
	v_mul_f64 v[40:41], v[44:45], v[38:39]
	v_fma_f64 v[108:109], v[42:43], v[36:37], v[40:41]
	v_mul_f64 v[36:37], v[44:45], v[36:37]
	v_add_f64 v[44:45], v[86:87], -v[90:91]
	v_fma_f64 v[110:111], v[42:43], v[38:39], -v[36:37]
	buffer_load_dword v38, off, s[36:39], 0 offset:596 ; 4-byte Folded Reload
	buffer_load_dword v39, off, s[36:39], 0 offset:600 ; 4-byte Folded Reload
	;; [unrolled: 1-line block ×4, first 2 shown]
	v_add_f64 v[42:43], v[84:85], v[80:81]
	s_waitcnt vmcnt(0) lgkmcnt(2)
	v_mul_f64 v[36:37], v[40:41], v[34:35]
	v_fma_f64 v[112:113], v[38:39], v[32:33], v[36:37]
	v_mul_f64 v[32:33], v[40:41], v[32:33]
	v_add_f64 v[40:41], v[90:91], v[86:87]
	v_fma_f64 v[114:115], v[38:39], v[34:35], -v[32:33]
	buffer_load_dword v34, off, s[36:39], 0 offset:716 ; 4-byte Folded Reload
	buffer_load_dword v35, off, s[36:39], 0 offset:720 ; 4-byte Folded Reload
	;; [unrolled: 1-line block ×4, first 2 shown]
	v_add_f64 v[38:39], v[88:89], -v[76:77]
	v_add_f64 v[90:91], v[110:111], v[114:115]
	v_add_f64 v[86:87], v[46:47], -v[38:39]
	s_waitcnt vmcnt(0) lgkmcnt(1)
	v_mul_f64 v[32:33], v[36:37], v[30:31]
	v_fma_f64 v[116:117], v[34:35], v[28:29], v[32:33]
	v_mul_f64 v[28:29], v[36:37], v[28:29]
	v_add_f64 v[36:37], v[94:95], -v[82:83]
	v_fma_f64 v[118:119], v[34:35], v[30:31], -v[28:29]
	buffer_load_dword v30, off, s[36:39], 0 offset:656 ; 4-byte Folded Reload
	buffer_load_dword v31, off, s[36:39], 0 offset:660 ; 4-byte Folded Reload
	;; [unrolled: 1-line block ×4, first 2 shown]
	v_add_f64 v[34:35], v[88:89], v[76:77]
	v_add_f64 v[80:81], v[44:45], v[36:37]
	v_add_f64 v[84:85], v[44:45], -v[36:37]
	v_add_f64 v[88:89], v[108:109], v[112:113]
	s_waitcnt vmcnt(0) lgkmcnt(0)
	v_mul_f64 v[28:29], v[32:33], v[26:27]
	v_fma_f64 v[120:121], v[30:31], v[24:25], v[28:29]
	v_mul_f64 v[24:25], v[32:33], v[24:25]
	v_add_f64 v[32:33], v[94:95], v[82:83]
	v_add_f64 v[28:29], v[98:99], -v[78:79]
	v_add_f64 v[82:83], v[46:47], v[38:39]
	v_add_f64 v[94:95], v[114:115], -v[110:111]
	v_fma_f64 v[122:123], v[30:31], v[26:27], -v[24:25]
	v_add_f64 v[24:25], v[98:99], v[78:79]
	v_add_f64 v[26:27], v[92:93], v[68:69]
	v_add_f64 v[30:31], v[92:93], -v[68:69]
	v_add_f64 v[44:45], v[28:29], -v[44:45]
	;; [unrolled: 1-line block ×3, first 2 shown]
	v_add_f64 v[28:29], v[80:81], v[28:29]
	v_mul_f64 v[80:81], v[84:85], s[16:17]
	v_add_f64 v[92:93], v[112:113], -v[108:109]
	v_add_f64 v[50:51], v[32:33], v[24:25]
	v_add_f64 v[68:69], v[34:35], v[26:27]
	v_add_f64 v[76:77], v[32:33], -v[24:25]
	v_add_f64 v[78:79], v[34:35], -v[26:27]
	;; [unrolled: 1-line block ×6, first 2 shown]
	v_add_f64 v[40:41], v[40:41], v[50:51]
	v_add_f64 v[42:43], v[42:43], v[68:69]
	v_add_f64 v[46:47], v[30:31], -v[46:47]
	v_add_f64 v[38:39], v[38:39], -v[30:31]
	v_add_f64 v[30:31], v[82:83], v[30:31]
	v_mul_f64 v[82:83], v[86:87], s[16:17]
	v_mul_f64 v[50:51], v[32:33], s[6:7]
	v_mul_f64 v[68:69], v[34:35], s[6:7]
	v_add_f64 v[20:21], v[20:21], v[40:41]
	v_add_f64 v[22:23], v[22:23], v[42:43]
	v_mul_f64 v[24:25], v[24:25], s[14:15]
	v_mul_f64 v[26:27], v[26:27], s[14:15]
	;; [unrolled: 1-line block ×4, first 2 shown]
	v_fma_f64 v[50:51], v[76:77], s[12:13], -v[50:51]
	v_fma_f64 v[68:69], v[78:79], s[12:13], -v[68:69]
	v_fma_f64 v[40:41], v[40:41], s[24:25], v[20:21]
	v_fma_f64 v[42:43], v[42:43], s[24:25], v[22:23]
	v_fma_f64 v[36:37], v[36:37], s[4:5], -v[80:81]
	v_fma_f64 v[38:39], v[38:39], s[4:5], -v[82:83]
	v_fma_f64 v[32:33], v[32:33], s[6:7], v[24:25]
	v_fma_f64 v[34:35], v[34:35], s[6:7], v[26:27]
	v_fma_f64 v[24:25], v[76:77], s[18:19], -v[24:25]
	v_fma_f64 v[76:77], v[44:45], s[26:27], v[80:81]
	v_fma_f64 v[44:45], v[44:45], s[22:23], -v[84:85]
	v_add_f64 v[50:51], v[50:51], v[40:41]
	v_add_f64 v[68:69], v[68:69], v[42:43]
	v_fma_f64 v[84:85], v[28:29], s[20:21], v[36:37]
	v_fma_f64 v[36:37], v[30:31], s[20:21], v[38:39]
	v_fma_f64 v[26:27], v[78:79], s[18:19], -v[26:27]
	v_fma_f64 v[78:79], v[46:47], s[26:27], v[82:83]
	v_fma_f64 v[46:47], v[46:47], s[22:23], -v[86:87]
	v_add_f64 v[80:81], v[32:33], v[40:41]
	v_add_f64 v[82:83], v[34:35], v[42:43]
	;; [unrolled: 1-line block ×4, first 2 shown]
	v_add_f64 v[32:33], v[50:51], -v[36:37]
	v_add_f64 v[36:37], v[36:37], v[50:51]
	v_add_f64 v[38:39], v[68:69], -v[84:85]
	v_add_f64 v[50:51], v[70:71], v[54:55]
	v_add_f64 v[68:69], v[72:73], v[48:49]
	v_add_f64 v[54:55], v[70:71], -v[54:55]
	v_add_f64 v[48:49], v[72:73], -v[48:49]
	v_add_f64 v[70:71], v[74:75], v[58:59]
	v_add_f64 v[72:73], v[64:65], v[52:53]
	;; [unrolled: 1-line block ×3, first 2 shown]
	v_fma_f64 v[76:77], v[28:29], s[20:21], v[76:77]
	v_fma_f64 v[78:79], v[30:31], s[20:21], v[78:79]
	;; [unrolled: 1-line block ×4, first 2 shown]
	v_add_f64 v[58:59], v[74:75], -v[58:59]
	v_add_f64 v[52:53], v[64:65], -v[52:53]
	v_add_f64 v[64:65], v[66:67], v[62:63]
	v_add_f64 v[74:75], v[60:61], v[56:57]
	v_add_f64 v[62:63], v[62:63], -v[66:67]
	v_add_f64 v[56:57], v[56:57], -v[60:61]
	v_add_f64 v[60:61], v[70:71], v[50:51]
	v_add_f64 v[66:67], v[72:73], v[68:69]
	;; [unrolled: 1-line block ×3, first 2 shown]
	v_add_f64 v[26:27], v[82:83], -v[76:77]
	v_add_f64 v[28:29], v[46:47], v[40:41]
	v_add_f64 v[30:31], v[42:43], -v[44:45]
	v_add_f64 v[40:41], v[40:41], -v[46:47]
	v_add_f64 v[42:43], v[44:45], v[42:43]
	v_add_f64 v[44:45], v[80:81], -v[78:79]
	v_add_f64 v[46:47], v[76:77], v[82:83]
	v_add_f64 v[76:77], v[70:71], -v[50:51]
	v_add_f64 v[78:79], v[72:73], -v[68:69]
	;; [unrolled: 1-line block ×6, first 2 shown]
	v_add_f64 v[80:81], v[62:63], v[58:59]
	v_add_f64 v[82:83], v[56:57], v[52:53]
	v_add_f64 v[84:85], v[62:63], -v[58:59]
	v_add_f64 v[86:87], v[56:57], -v[52:53]
	;; [unrolled: 1-line block ×4, first 2 shown]
	v_add_f64 v[60:61], v[64:65], v[60:61]
	v_add_f64 v[64:65], v[74:75], v[66:67]
	v_add_f64 v[62:63], v[54:55], -v[62:63]
	v_add_f64 v[56:57], v[48:49], -v[56:57]
	v_add_f64 v[54:55], v[80:81], v[54:55]
	v_add_f64 v[48:49], v[82:83], v[48:49]
	v_mul_f64 v[50:51], v[50:51], s[14:15]
	v_mul_f64 v[66:67], v[68:69], s[14:15]
	v_add_f64 v[16:17], v[16:17], v[60:61]
	v_add_f64 v[18:19], v[18:19], v[64:65]
	v_mul_f64 v[68:69], v[70:71], s[6:7]
	v_mul_f64 v[74:75], v[72:73], s[6:7]
	;; [unrolled: 1-line block ×6, first 2 shown]
	v_fma_f64 v[60:61], v[60:61], s[24:25], v[16:17]
	v_fma_f64 v[64:65], v[64:65], s[24:25], v[18:19]
	;; [unrolled: 1-line block ×4, first 2 shown]
	v_fma_f64 v[68:69], v[76:77], s[12:13], -v[68:69]
	v_fma_f64 v[74:75], v[78:79], s[12:13], -v[74:75]
	;; [unrolled: 1-line block ×4, first 2 shown]
	v_fma_f64 v[76:77], v[62:63], s[26:27], v[80:81]
	v_fma_f64 v[78:79], v[56:57], s[26:27], v[82:83]
	v_fma_f64 v[58:59], v[58:59], s[4:5], -v[80:81]
	v_fma_f64 v[52:53], v[52:53], s[4:5], -v[82:83]
	;; [unrolled: 1-line block ×4, first 2 shown]
	v_add_f64 v[70:71], v[70:71], v[60:61]
	v_add_f64 v[72:73], v[72:73], v[64:65]
	;; [unrolled: 1-line block ×6, first 2 shown]
	v_fma_f64 v[76:77], v[54:55], s[20:21], v[76:77]
	v_fma_f64 v[78:79], v[48:49], s[20:21], v[78:79]
	;; [unrolled: 1-line block ×6, first 2 shown]
	v_add_f64 v[86:87], v[106:107], -v[118:119]
	v_add_f64 v[50:51], v[72:73], -v[76:77]
	v_add_f64 v[48:49], v[78:79], v[70:71]
	v_add_f64 v[58:59], v[64:65], v[74:75]
	v_add_f64 v[56:57], v[68:69], -v[60:61]
	v_add_f64 v[54:55], v[66:67], -v[82:83]
	v_add_f64 v[52:53], v[84:85], v[80:81]
	v_add_f64 v[60:61], v[60:61], v[68:69]
	v_add_f64 v[62:63], v[74:75], -v[64:65]
	v_add_f64 v[64:65], v[80:81], -v[84:85]
	v_add_f64 v[66:67], v[82:83], v[66:67]
	v_add_f64 v[68:69], v[70:71], -v[78:79]
	v_add_f64 v[70:71], v[76:77], v[72:73]
	v_add_f64 v[72:73], v[100:101], v[120:121]
	;; [unrolled: 1-line block ×5, first 2 shown]
	v_add_f64 v[76:77], v[100:101], -v[120:121]
	v_add_f64 v[78:79], v[102:103], -v[122:123]
	;; [unrolled: 1-line block ×3, first 2 shown]
	v_add_f64 v[108:109], v[94:95], v[86:87]
	v_add_f64 v[112:113], v[94:95], -v[86:87]
	v_add_f64 v[98:99], v[80:81], v[72:73]
	v_add_f64 v[100:101], v[82:83], v[74:75]
	v_add_f64 v[102:103], v[80:81], -v[72:73]
	v_add_f64 v[104:105], v[82:83], -v[74:75]
	;; [unrolled: 1-line block ×6, first 2 shown]
	v_add_f64 v[106:107], v[92:93], v[84:85]
	v_add_f64 v[110:111], v[92:93], -v[84:85]
	v_add_f64 v[84:85], v[84:85], -v[76:77]
	;; [unrolled: 1-line block ×3, first 2 shown]
	v_add_f64 v[88:89], v[88:89], v[98:99]
	v_add_f64 v[90:91], v[90:91], v[100:101]
	v_add_f64 v[92:93], v[76:77], -v[92:93]
	v_add_f64 v[94:95], v[78:79], -v[94:95]
	v_add_f64 v[76:77], v[106:107], v[76:77]
	v_add_f64 v[78:79], v[108:109], v[78:79]
	v_mul_f64 v[72:73], v[72:73], s[14:15]
	v_mul_f64 v[74:75], v[74:75], s[14:15]
	v_add_f64 v[12:13], v[12:13], v[88:89]
	v_add_f64 v[14:15], v[14:15], v[90:91]
	v_mul_f64 v[98:99], v[80:81], s[6:7]
	v_mul_f64 v[100:101], v[82:83], s[6:7]
	;; [unrolled: 1-line block ×6, first 2 shown]
	v_fma_f64 v[88:89], v[88:89], s[24:25], v[12:13]
	v_fma_f64 v[90:91], v[90:91], s[24:25], v[14:15]
	;; [unrolled: 1-line block ×4, first 2 shown]
	v_fma_f64 v[98:99], v[102:103], s[12:13], -v[98:99]
	v_fma_f64 v[100:101], v[104:105], s[12:13], -v[100:101]
	v_fma_f64 v[72:73], v[102:103], s[18:19], -v[72:73]
	v_fma_f64 v[74:75], v[104:105], s[18:19], -v[74:75]
	v_fma_f64 v[102:103], v[92:93], s[26:27], v[106:107]
	v_fma_f64 v[104:105], v[94:95], s[26:27], v[108:109]
	v_fma_f64 v[84:85], v[84:85], s[4:5], -v[106:107]
	v_fma_f64 v[86:87], v[86:87], s[4:5], -v[108:109]
	;; [unrolled: 1-line block ×4, first 2 shown]
	v_add_f64 v[106:107], v[80:81], v[88:89]
	v_add_f64 v[108:109], v[82:83], v[90:91]
	;; [unrolled: 1-line block ×6, first 2 shown]
	v_fma_f64 v[102:103], v[76:77], s[20:21], v[102:103]
	v_fma_f64 v[104:105], v[78:79], s[20:21], v[104:105]
	v_fma_f64 v[110:111], v[76:77], s[20:21], v[84:85]
	v_fma_f64 v[84:85], v[78:79], s[20:21], v[86:87]
	v_fma_f64 v[92:93], v[76:77], s[20:21], v[92:93]
	v_fma_f64 v[94:95], v[78:79], s[20:21], v[94:95]
	v_add_f64 v[74:75], v[108:109], -v[102:103]
	v_add_f64 v[72:73], v[104:105], v[106:107]
	v_add_f64 v[82:83], v[110:111], v[100:101]
	v_add_f64 v[80:81], v[98:99], -v[84:85]
	v_add_f64 v[78:79], v[90:91], -v[92:93]
	v_add_f64 v[76:77], v[94:95], v[88:89]
	v_add_f64 v[84:85], v[84:85], v[98:99]
	v_add_f64 v[86:87], v[100:101], -v[110:111]
	v_add_f64 v[88:89], v[88:89], -v[94:95]
	v_add_f64 v[90:91], v[92:93], v[90:91]
	v_add_f64 v[92:93], v[106:107], -v[104:105]
	v_add_f64 v[94:95], v[102:103], v[108:109]
	ds_write_b128 v96, v[20:23]
	ds_write_b128 v96, v[24:27] offset:3456
	ds_write_b128 v96, v[28:31] offset:6912
	;; [unrolled: 1-line block ×20, first 2 shown]
	s_and_saveexec_b64 s[28:29], s[0:1]
	s_cbranch_execz .LBB0_9
; %bb.8:
	buffer_load_dword v34, off, s[36:39], 0 offset:1520 ; 4-byte Folded Reload
	buffer_load_dword v35, off, s[36:39], 0 offset:1524 ; 4-byte Folded Reload
	;; [unrolled: 1-line block ×16, first 2 shown]
	s_waitcnt vmcnt(12)
	v_mul_f64 v[12:13], v[36:37], v[250:251]
	s_waitcnt vmcnt(8)
	v_mul_f64 v[14:15], v[40:41], v[224:225]
	;; [unrolled: 2-line block ×4, first 2 shown]
	v_mul_f64 v[20:21], v[52:53], v[216:217]
	buffer_load_dword v52, off, s[36:39], 0 offset:1600 ; 4-byte Folded Reload
	buffer_load_dword v53, off, s[36:39], 0 offset:1604 ; 4-byte Folded Reload
	;; [unrolled: 1-line block ×8, first 2 shown]
	v_mul_f64 v[16:17], v[48:49], v[6:7]
	v_mul_f64 v[32:33], v[36:37], v[248:249]
	v_fma_f64 v[12:13], v[34:35], v[248:249], v[12:13]
	v_fma_f64 v[6:7], v[46:47], v[6:7], -v[22:23]
	v_mul_f64 v[22:23], v[40:41], v[222:223]
	v_fma_f64 v[20:21], v[50:51], v[218:219], -v[20:21]
	v_fma_f64 v[14:15], v[38:39], v[222:223], v[14:15]
	v_fma_f64 v[4:5], v[46:47], v[4:5], v[16:17]
	;; [unrolled: 1-line block ×3, first 2 shown]
	v_fma_f64 v[18:19], v[38:39], v[224:225], -v[22:23]
	v_fma_f64 v[22:23], v[34:35], v[250:251], -v[32:33]
	v_add_f64 v[32:33], v[12:13], -v[14:15]
	v_add_f64 v[12:13], v[14:15], v[12:13]
	v_add_f64 v[40:41], v[4:5], -v[16:17]
	v_add_f64 v[4:5], v[4:5], v[16:17]
	v_add_f64 v[36:37], v[18:19], v[22:23]
	v_add_f64 v[18:19], v[22:23], -v[18:19]
	s_waitcnt vmcnt(4)
	v_mul_f64 v[24:25], v[54:55], v[252:253]
	s_waitcnt vmcnt(0)
	v_mul_f64 v[26:27], v[44:45], v[8:9]
	v_mul_f64 v[28:29], v[44:45], v[10:11]
	;; [unrolled: 1-line block ×3, first 2 shown]
	v_fma_f64 v[24:25], v[52:53], v[254:255], -v[24:25]
	v_fma_f64 v[10:11], v[42:43], v[10:11], -v[26:27]
	v_fma_f64 v[8:9], v[42:43], v[8:9], v[28:29]
	v_fma_f64 v[26:27], v[52:53], v[252:253], v[30:31]
	v_add_f64 v[28:29], v[6:7], v[20:21]
	v_add_f64 v[20:21], v[6:7], -v[20:21]
	v_add_f64 v[6:7], v[4:5], -v[12:13]
	v_add_f64 v[30:31], v[10:11], v[24:25]
	v_add_f64 v[10:11], v[10:11], -v[24:25]
	v_add_f64 v[34:35], v[8:9], -v[26:27]
	v_add_f64 v[8:9], v[8:9], v[26:27]
	v_add_f64 v[16:17], v[28:29], -v[36:37]
	v_add_f64 v[38:39], v[30:31], v[28:29]
	v_add_f64 v[28:29], v[30:31], -v[28:29]
	v_add_f64 v[42:43], v[32:33], -v[34:35]
	v_add_f64 v[44:45], v[8:9], v[4:5]
	v_mul_f64 v[14:15], v[16:17], s[14:15]
	v_add_f64 v[16:17], v[36:37], -v[30:31]
	v_add_f64 v[22:23], v[34:35], -v[40:41]
	;; [unrolled: 1-line block ×3, first 2 shown]
	v_add_f64 v[26:27], v[36:37], v[38:39]
	v_add_f64 v[38:39], v[40:41], -v[32:33]
	v_mul_f64 v[42:43], v[42:43], s[16:17]
	v_add_f64 v[32:33], v[32:33], v[34:35]
	v_add_f64 v[36:37], v[12:13], v[44:45]
	v_fma_f64 v[46:47], v[16:17], s[6:7], v[14:15]
	v_add_f64 v[12:13], v[12:13], -v[8:9]
	v_mul_f64 v[30:31], v[6:7], s[14:15]
	v_add_f64 v[2:3], v[2:3], v[26:27]
	v_mul_f64 v[16:17], v[16:17], s[6:7]
	v_fma_f64 v[44:45], v[38:39], s[26:27], v[42:43]
	v_add_f64 v[32:33], v[32:33], v[40:41]
	v_add_f64 v[40:41], v[18:19], -v[10:11]
	v_add_f64 v[0:1], v[0:1], v[36:37]
	v_add_f64 v[10:11], v[18:19], v[10:11]
	v_fma_f64 v[14:15], v[28:29], s[18:19], -v[14:15]
	v_fma_f64 v[26:27], v[26:27], s[24:25], v[2:3]
	v_add_f64 v[4:5], v[8:9], -v[4:5]
	v_mul_f64 v[8:9], v[48:49], s[4:5]
	v_fma_f64 v[24:25], v[32:33], s[20:21], v[44:45]
	v_mul_f64 v[44:45], v[22:23], s[4:5]
	v_mul_f64 v[40:41], v[40:41], s[16:17]
	v_fma_f64 v[36:37], v[36:37], s[24:25], v[0:1]
	v_add_f64 v[10:11], v[10:11], v[20:21]
	v_add_f64 v[34:35], v[46:47], v[26:27]
	v_add_f64 v[46:47], v[20:21], -v[18:19]
	v_mul_f64 v[18:19], v[12:13], s[6:7]
	v_fma_f64 v[12:13], v[12:13], s[6:7], v[30:31]
	v_fma_f64 v[38:39], v[38:39], s[22:23], -v[44:45]
	v_fma_f64 v[20:21], v[22:23], s[4:5], -v[42:43]
	;; [unrolled: 1-line block ×3, first 2 shown]
	v_add_f64 v[28:29], v[14:15], v[26:27]
	v_fma_f64 v[14:15], v[4:5], s[18:19], -v[30:31]
	v_fma_f64 v[44:45], v[46:47], s[26:27], v[40:41]
	v_fma_f64 v[8:9], v[46:47], s[22:23], -v[8:9]
	v_fma_f64 v[4:5], v[4:5], s[12:13], -v[18:19]
	;; [unrolled: 1-line block ×3, first 2 shown]
	v_fma_f64 v[22:23], v[32:33], s[20:21], v[38:39]
	v_fma_f64 v[20:21], v[32:33], s[20:21], v[20:21]
	v_add_f64 v[30:31], v[12:13], v[36:37]
	v_add_f64 v[16:17], v[16:17], v[26:27]
	v_fma_f64 v[32:33], v[10:11], s[20:21], v[44:45]
	v_add_f64 v[38:39], v[14:15], v[36:37]
	v_fma_f64 v[8:9], v[10:11], s[20:21], v[8:9]
	;; [unrolled: 2-line block ×3, first 2 shown]
	v_add_f64 v[6:7], v[24:25], v[34:35]
	v_add_f64 v[26:27], v[34:35], -v[24:25]
	v_add_f64 v[10:11], v[22:23], v[28:29]
	v_add_f64 v[24:25], v[32:33], v[30:31]
	v_add_f64 v[14:15], v[16:17], -v[20:21]
	v_add_f64 v[18:19], v[20:21], v[16:17]
	v_add_f64 v[22:23], v[28:29], -v[22:23]
	;; [unrolled: 2-line block ×4, first 2 shown]
	v_add_f64 v[4:5], v[30:31], -v[32:33]
	ds_write_b128 v96, v[0:3] offset:3024
	ds_write_b128 v96, v[24:27] offset:6480
	;; [unrolled: 1-line block ×7, first 2 shown]
.LBB0_9:
	s_or_b64 exec, exec, s[28:29]
	s_waitcnt lgkmcnt(0)
	; wave barrier
	s_waitcnt lgkmcnt(0)
	ds_read_b128 v[0:3], v96
	ds_read_b128 v[4:7], v96 offset:1008
	buffer_load_dword v18, off, s[36:39], 0 offset:152 ; 4-byte Folded Reload
	buffer_load_dword v19, off, s[36:39], 0 offset:156 ; 4-byte Folded Reload
	;; [unrolled: 1-line block ×6, first 2 shown]
	v_mov_b32_e32 v24, s3
	s_mul_hi_u32 s3, s8, 0x2f40
	s_waitcnt vmcnt(2) lgkmcnt(1)
	v_mul_f64 v[8:9], v[20:21], v[2:3]
	s_waitcnt vmcnt(1)
	v_mov_b32_e32 v15, v10
	s_waitcnt vmcnt(0)
	v_mul_f64 v[10:11], v[20:21], v[0:1]
	v_mad_u64_u32 v[12:13], s[0:1], s10, v15, 0
                                        ; kill: def $vgpr14 killed $sgpr0 killed $exec
	v_mad_u64_u32 v[16:17], s[0:1], s8, v97, 0
	v_fma_f64 v[0:1], v[18:19], v[0:1], v[8:9]
	v_mad_u64_u32 v[8:9], s[0:1], s11, v15, v[13:14]
	v_mov_b32_e32 v9, v17
	v_mad_u64_u32 v[14:15], s[4:5], s9, v97, v[9:10]
	v_mov_b32_e32 v13, v8
	v_fma_f64 v[2:3], v[18:19], v[2:3], -v[10:11]
	ds_read_b128 v[8:11], v96 offset:12096
	v_mov_b32_e32 v17, v14
	v_lshlrev_b64 v[18:19], 4, v[12:13]
	ds_read_b128 v[12:15], v96 offset:13104
	buffer_load_dword v25, off, s[36:39], 0 offset:40 ; 4-byte Folded Reload
	buffer_load_dword v26, off, s[36:39], 0 offset:44 ; 4-byte Folded Reload
	;; [unrolled: 1-line block ×4, first 2 shown]
	s_mov_b32 s0, 0x6b015ac0
	s_mov_b32 s1, 0x3f45ac05
	v_mul_f64 v[0:1], v[0:1], s[0:1]
	v_mul_f64 v[2:3], v[2:3], s[0:1]
	v_add_co_u32_e32 v18, vcc, s2, v18
	v_lshlrev_b64 v[16:17], 4, v[16:17]
	v_addc_co_u32_e32 v19, vcc, v24, v19, vcc
	v_add_co_u32_e32 v16, vcc, v18, v16
	v_addc_co_u32_e32 v17, vcc, v19, v17, vcc
	global_store_dwordx4 v[16:17], v[0:3], off
	s_mul_i32 s2, s9, 0x2f40
	s_add_i32 s2, s3, s2
	s_mul_i32 s3, s8, 0x2f40
	v_add_co_u32_e32 v16, vcc, s3, v16
	s_mul_hi_u32 s5, s8, 0xffffd4b0
	s_mul_i32 s4, s9, 0xffffd4b0
	s_sub_i32 s5, s5, s8
	s_add_i32 s5, s5, s4
	s_mul_i32 s4, s8, 0xffffd4b0
	s_waitcnt vmcnt(1) lgkmcnt(1)
	v_mul_f64 v[20:21], v[27:28], v[10:11]
	v_mul_f64 v[22:23], v[27:28], v[8:9]
	v_fma_f64 v[8:9], v[25:26], v[8:9], v[20:21]
	v_fma_f64 v[10:11], v[25:26], v[10:11], -v[22:23]
	buffer_load_dword v22, off, s[36:39], 0 offset:120 ; 4-byte Folded Reload
	buffer_load_dword v23, off, s[36:39], 0 offset:124 ; 4-byte Folded Reload
	buffer_load_dword v24, off, s[36:39], 0 offset:128 ; 4-byte Folded Reload
	buffer_load_dword v25, off, s[36:39], 0 offset:132 ; 4-byte Folded Reload
	v_mul_f64 v[0:1], v[8:9], s[0:1]
	v_mul_f64 v[2:3], v[10:11], s[0:1]
	v_mov_b32_e32 v8, s2
	v_addc_co_u32_e32 v17, vcc, v17, v8, vcc
	global_store_dwordx4 v[16:17], v[0:3], off
	v_add_co_u32_e32 v16, vcc, s4, v16
	s_waitcnt vmcnt(1)
	v_mul_f64 v[18:19], v[24:25], v[6:7]
	v_mul_f64 v[20:21], v[24:25], v[4:5]
	v_fma_f64 v[4:5], v[22:23], v[4:5], v[18:19]
	v_fma_f64 v[6:7], v[22:23], v[6:7], -v[20:21]
	buffer_load_dword v18, off, s[36:39], 0 offset:136 ; 4-byte Folded Reload
	buffer_load_dword v19, off, s[36:39], 0 offset:140 ; 4-byte Folded Reload
	;; [unrolled: 1-line block ×4, first 2 shown]
	v_mov_b32_e32 v22, s5
	v_addc_co_u32_e32 v17, vcc, v17, v22, vcc
	v_mul_f64 v[0:1], v[4:5], s[0:1]
	v_mul_f64 v[2:3], v[6:7], s[0:1]
	ds_read_b128 v[4:7], v96 offset:2016
	s_waitcnt vmcnt(0) lgkmcnt(1)
	v_mul_f64 v[8:9], v[20:21], v[14:15]
	v_mul_f64 v[10:11], v[20:21], v[12:13]
	v_fma_f64 v[12:13], v[18:19], v[12:13], v[8:9]
	v_fma_f64 v[14:15], v[18:19], v[14:15], -v[10:11]
	ds_read_b128 v[8:11], v96 offset:3024
	buffer_load_dword v23, off, s[36:39], 0 offset:72 ; 4-byte Folded Reload
	buffer_load_dword v24, off, s[36:39], 0 offset:76 ; 4-byte Folded Reload
	;; [unrolled: 1-line block ×4, first 2 shown]
	s_waitcnt vmcnt(0) lgkmcnt(1)
	v_mul_f64 v[18:19], v[25:26], v[6:7]
	v_mul_f64 v[20:21], v[25:26], v[4:5]
	global_store_dwordx4 v[16:17], v[0:3], off
	v_mov_b32_e32 v26, s2
	v_mul_f64 v[0:1], v[12:13], s[0:1]
	v_mul_f64 v[2:3], v[14:15], s[0:1]
	ds_read_b128 v[12:15], v96 offset:14112
	v_add_co_u32_e32 v16, vcc, s3, v16
	v_fma_f64 v[18:19], v[23:24], v[4:5], v[18:19]
	v_fma_f64 v[20:21], v[23:24], v[6:7], -v[20:21]
	ds_read_b128 v[4:7], v96 offset:15120
	buffer_load_dword v27, off, s[36:39], 0 offset:56 ; 4-byte Folded Reload
	buffer_load_dword v28, off, s[36:39], 0 offset:60 ; 4-byte Folded Reload
	;; [unrolled: 1-line block ×4, first 2 shown]
	v_addc_co_u32_e32 v17, vcc, v17, v26, vcc
	global_store_dwordx4 v[16:17], v[0:3], off
	v_mov_b32_e32 v26, s5
	v_mul_f64 v[0:1], v[18:19], s[0:1]
	v_mul_f64 v[2:3], v[20:21], s[0:1]
	v_add_co_u32_e32 v16, vcc, s4, v16
	v_addc_co_u32_e32 v17, vcc, v17, v26, vcc
	s_waitcnt vmcnt(1) lgkmcnt(1)
	v_mul_f64 v[22:23], v[29:30], v[14:15]
	v_mul_f64 v[24:25], v[29:30], v[12:13]
	v_fma_f64 v[12:13], v[27:28], v[12:13], v[22:23]
	v_fma_f64 v[14:15], v[27:28], v[14:15], -v[24:25]
	buffer_load_dword v27, off, s[36:39], 0 offset:104 ; 4-byte Folded Reload
	buffer_load_dword v28, off, s[36:39], 0 offset:108 ; 4-byte Folded Reload
	;; [unrolled: 1-line block ×4, first 2 shown]
	v_mov_b32_e32 v22, s2
	global_store_dwordx4 v[16:17], v[0:3], off
	v_add_co_u32_e32 v16, vcc, s3, v16
	v_addc_co_u32_e32 v17, vcc, v17, v22, vcc
	v_mul_f64 v[0:1], v[12:13], s[0:1]
	v_mul_f64 v[2:3], v[14:15], s[0:1]
	v_mov_b32_e32 v22, s5
	s_waitcnt vmcnt(1)
	v_mul_f64 v[18:19], v[29:30], v[10:11]
	v_mul_f64 v[20:21], v[29:30], v[8:9]
	v_fma_f64 v[8:9], v[27:28], v[8:9], v[18:19]
	v_fma_f64 v[10:11], v[27:28], v[10:11], -v[20:21]
	buffer_load_dword v18, off, s[36:39], 0 offset:88 ; 4-byte Folded Reload
	buffer_load_dword v19, off, s[36:39], 0 offset:92 ; 4-byte Folded Reload
	buffer_load_dword v20, off, s[36:39], 0 offset:96 ; 4-byte Folded Reload
	buffer_load_dword v21, off, s[36:39], 0 offset:100 ; 4-byte Folded Reload
	s_waitcnt vmcnt(0) lgkmcnt(0)
	v_mul_f64 v[12:13], v[20:21], v[6:7]
	v_mul_f64 v[14:15], v[20:21], v[4:5]
	global_store_dwordx4 v[16:17], v[0:3], off
	v_add_co_u32_e32 v16, vcc, s4, v16
	v_mul_f64 v[0:1], v[8:9], s[0:1]
	v_mul_f64 v[2:3], v[10:11], s[0:1]
	ds_read_b128 v[8:11], v96 offset:4032
	v_fma_f64 v[12:13], v[18:19], v[4:5], v[12:13]
	v_fma_f64 v[14:15], v[18:19], v[6:7], -v[14:15]
	ds_read_b128 v[4:7], v96 offset:5040
	buffer_load_dword v23, off, s[36:39], 0 offset:24 ; 4-byte Folded Reload
	buffer_load_dword v24, off, s[36:39], 0 offset:28 ; 4-byte Folded Reload
	buffer_load_dword v25, off, s[36:39], 0 offset:32 ; 4-byte Folded Reload
	buffer_load_dword v26, off, s[36:39], 0 offset:36 ; 4-byte Folded Reload
	v_addc_co_u32_e32 v17, vcc, v17, v22, vcc
	global_store_dwordx4 v[16:17], v[0:3], off
	v_add_co_u32_e32 v16, vcc, s3, v16
	v_mul_f64 v[0:1], v[12:13], s[0:1]
	v_mul_f64 v[2:3], v[14:15], s[0:1]
	ds_read_b128 v[12:15], v96 offset:16128
	s_waitcnt vmcnt(1) lgkmcnt(2)
	v_mul_f64 v[18:19], v[25:26], v[10:11]
	v_mul_f64 v[20:21], v[25:26], v[8:9]
	v_mov_b32_e32 v26, s2
	v_addc_co_u32_e32 v17, vcc, v17, v26, vcc
	v_mov_b32_e32 v26, s5
	v_fma_f64 v[18:19], v[23:24], v[8:9], v[18:19]
	v_fma_f64 v[20:21], v[23:24], v[10:11], -v[20:21]
	ds_read_b128 v[8:11], v96 offset:17136
	buffer_load_dword v27, off, s[36:39], 0 offset:344 ; 4-byte Folded Reload
	buffer_load_dword v28, off, s[36:39], 0 offset:348 ; 4-byte Folded Reload
	buffer_load_dword v29, off, s[36:39], 0 offset:352 ; 4-byte Folded Reload
	buffer_load_dword v30, off, s[36:39], 0 offset:356 ; 4-byte Folded Reload
	s_waitcnt vmcnt(0) lgkmcnt(1)
	v_mul_f64 v[22:23], v[29:30], v[14:15]
	v_mul_f64 v[24:25], v[29:30], v[12:13]
	global_store_dwordx4 v[16:17], v[0:3], off
	v_add_co_u32_e32 v16, vcc, s4, v16
	v_mul_f64 v[0:1], v[18:19], s[0:1]
	v_mul_f64 v[2:3], v[20:21], s[0:1]
	v_addc_co_u32_e32 v17, vcc, v17, v26, vcc
	v_fma_f64 v[12:13], v[27:28], v[12:13], v[22:23]
	v_fma_f64 v[14:15], v[27:28], v[14:15], -v[24:25]
	buffer_load_dword v27, off, s[36:39], 0 offset:376 ; 4-byte Folded Reload
	buffer_load_dword v28, off, s[36:39], 0 offset:380 ; 4-byte Folded Reload
	buffer_load_dword v29, off, s[36:39], 0 offset:384 ; 4-byte Folded Reload
	buffer_load_dword v30, off, s[36:39], 0 offset:388 ; 4-byte Folded Reload
	v_mov_b32_e32 v22, s2
	global_store_dwordx4 v[16:17], v[0:3], off
	v_add_co_u32_e32 v16, vcc, s3, v16
	v_mul_f64 v[0:1], v[12:13], s[0:1]
	v_mul_f64 v[2:3], v[14:15], s[0:1]
	v_addc_co_u32_e32 v17, vcc, v17, v22, vcc
	v_mov_b32_e32 v22, s5
	s_waitcnt vmcnt(1)
	v_mul_f64 v[18:19], v[29:30], v[6:7]
	v_mul_f64 v[20:21], v[29:30], v[4:5]
	v_fma_f64 v[4:5], v[27:28], v[4:5], v[18:19]
	v_fma_f64 v[6:7], v[27:28], v[6:7], -v[20:21]
	buffer_load_dword v18, off, s[36:39], 0 offset:360 ; 4-byte Folded Reload
	buffer_load_dword v19, off, s[36:39], 0 offset:364 ; 4-byte Folded Reload
	buffer_load_dword v20, off, s[36:39], 0 offset:368 ; 4-byte Folded Reload
	buffer_load_dword v21, off, s[36:39], 0 offset:372 ; 4-byte Folded Reload
	s_waitcnt vmcnt(0) lgkmcnt(0)
	v_mul_f64 v[12:13], v[20:21], v[10:11]
	v_mul_f64 v[14:15], v[20:21], v[8:9]
	global_store_dwordx4 v[16:17], v[0:3], off
	v_add_co_u32_e32 v16, vcc, s4, v16
	v_mul_f64 v[0:1], v[4:5], s[0:1]
	v_mul_f64 v[2:3], v[6:7], s[0:1]
	ds_read_b128 v[4:7], v96 offset:6048
	v_fma_f64 v[12:13], v[18:19], v[8:9], v[12:13]
	v_fma_f64 v[14:15], v[18:19], v[10:11], -v[14:15]
	ds_read_b128 v[8:11], v96 offset:7056
	buffer_load_dword v23, off, s[36:39], 0 offset:328 ; 4-byte Folded Reload
	buffer_load_dword v24, off, s[36:39], 0 offset:332 ; 4-byte Folded Reload
	buffer_load_dword v25, off, s[36:39], 0 offset:336 ; 4-byte Folded Reload
	buffer_load_dword v26, off, s[36:39], 0 offset:340 ; 4-byte Folded Reload
	v_addc_co_u32_e32 v17, vcc, v17, v22, vcc
	global_store_dwordx4 v[16:17], v[0:3], off
	v_add_co_u32_e32 v16, vcc, s3, v16
	v_mul_f64 v[0:1], v[12:13], s[0:1]
	v_mul_f64 v[2:3], v[14:15], s[0:1]
	ds_read_b128 v[12:15], v96 offset:18144
	s_waitcnt vmcnt(1) lgkmcnt(2)
	v_mul_f64 v[18:19], v[25:26], v[6:7]
	v_mul_f64 v[20:21], v[25:26], v[4:5]
	v_mov_b32_e32 v26, s2
	v_addc_co_u32_e32 v17, vcc, v17, v26, vcc
	v_mov_b32_e32 v26, s5
	v_fma_f64 v[18:19], v[23:24], v[4:5], v[18:19]
	v_fma_f64 v[20:21], v[23:24], v[6:7], -v[20:21]
	ds_read_b128 v[4:7], v96 offset:19152
	buffer_load_dword v27, off, s[36:39], 0 offset:296 ; 4-byte Folded Reload
	buffer_load_dword v28, off, s[36:39], 0 offset:300 ; 4-byte Folded Reload
	buffer_load_dword v29, off, s[36:39], 0 offset:304 ; 4-byte Folded Reload
	buffer_load_dword v30, off, s[36:39], 0 offset:308 ; 4-byte Folded Reload
	s_waitcnt vmcnt(0) lgkmcnt(1)
	v_mul_f64 v[22:23], v[29:30], v[14:15]
	v_mul_f64 v[24:25], v[29:30], v[12:13]
	global_store_dwordx4 v[16:17], v[0:3], off
	v_add_co_u32_e32 v16, vcc, s4, v16
	v_mul_f64 v[0:1], v[18:19], s[0:1]
	v_mul_f64 v[2:3], v[20:21], s[0:1]
	v_addc_co_u32_e32 v17, vcc, v17, v26, vcc
	v_fma_f64 v[12:13], v[27:28], v[12:13], v[22:23]
	v_fma_f64 v[14:15], v[27:28], v[14:15], -v[24:25]
	buffer_load_dword v27, off, s[36:39], 0 offset:312 ; 4-byte Folded Reload
	buffer_load_dword v28, off, s[36:39], 0 offset:316 ; 4-byte Folded Reload
	buffer_load_dword v29, off, s[36:39], 0 offset:320 ; 4-byte Folded Reload
	buffer_load_dword v30, off, s[36:39], 0 offset:324 ; 4-byte Folded Reload
	v_mov_b32_e32 v22, s2
	global_store_dwordx4 v[16:17], v[0:3], off
	v_add_co_u32_e32 v16, vcc, s3, v16
	v_mul_f64 v[0:1], v[12:13], s[0:1]
	v_mul_f64 v[2:3], v[14:15], s[0:1]
	v_addc_co_u32_e32 v17, vcc, v17, v22, vcc
	;; [unrolled: 64-line block ×3, first 2 shown]
	v_mov_b32_e32 v22, s5
	s_waitcnt vmcnt(1)
	v_mul_f64 v[18:19], v[29:30], v[6:7]
	v_mul_f64 v[20:21], v[29:30], v[4:5]
	v_fma_f64 v[4:5], v[27:28], v[4:5], v[18:19]
	v_fma_f64 v[6:7], v[27:28], v[6:7], -v[20:21]
	buffer_load_dword v18, off, s[36:39], 0 offset:216 ; 4-byte Folded Reload
	buffer_load_dword v19, off, s[36:39], 0 offset:220 ; 4-byte Folded Reload
	;; [unrolled: 1-line block ×4, first 2 shown]
	s_waitcnt vmcnt(0) lgkmcnt(0)
	v_mul_f64 v[12:13], v[20:21], v[10:11]
	v_mul_f64 v[14:15], v[20:21], v[8:9]
	global_store_dwordx4 v[16:17], v[0:3], off
	v_add_co_u32_e32 v16, vcc, s4, v16
	v_mul_f64 v[0:1], v[4:5], s[0:1]
	v_mul_f64 v[2:3], v[6:7], s[0:1]
	ds_read_b128 v[4:7], v96 offset:10080
	v_fma_f64 v[12:13], v[18:19], v[8:9], v[12:13]
	v_fma_f64 v[14:15], v[18:19], v[10:11], -v[14:15]
	ds_read_b128 v[8:11], v96 offset:11088
	buffer_load_dword v23, off, s[36:39], 0 offset:200 ; 4-byte Folded Reload
	buffer_load_dword v24, off, s[36:39], 0 offset:204 ; 4-byte Folded Reload
	;; [unrolled: 1-line block ×4, first 2 shown]
	v_addc_co_u32_e32 v17, vcc, v17, v22, vcc
	global_store_dwordx4 v[16:17], v[0:3], off
	v_add_co_u32_e32 v16, vcc, s3, v16
	v_mul_f64 v[0:1], v[12:13], s[0:1]
	v_mul_f64 v[2:3], v[14:15], s[0:1]
	ds_read_b128 v[12:15], v96 offset:22176
	s_waitcnt vmcnt(1) lgkmcnt(2)
	v_mul_f64 v[18:19], v[25:26], v[6:7]
	v_mul_f64 v[20:21], v[25:26], v[4:5]
	v_mov_b32_e32 v26, s2
	v_addc_co_u32_e32 v17, vcc, v17, v26, vcc
	v_fma_f64 v[18:19], v[23:24], v[4:5], v[18:19]
	v_fma_f64 v[20:21], v[23:24], v[6:7], -v[20:21]
	ds_read_b128 v[4:7], v96 offset:23184
	buffer_load_dword v27, off, s[36:39], 0 offset:168 ; 4-byte Folded Reload
	buffer_load_dword v28, off, s[36:39], 0 offset:172 ; 4-byte Folded Reload
	buffer_load_dword v29, off, s[36:39], 0 offset:176 ; 4-byte Folded Reload
	buffer_load_dword v30, off, s[36:39], 0 offset:180 ; 4-byte Folded Reload
	s_waitcnt vmcnt(0) lgkmcnt(1)
	v_mul_f64 v[22:23], v[29:30], v[14:15]
	v_mul_f64 v[24:25], v[29:30], v[12:13]
	global_store_dwordx4 v[16:17], v[0:3], off
	v_add_co_u32_e32 v16, vcc, s4, v16
	v_mul_f64 v[0:1], v[18:19], s[0:1]
	v_mov_b32_e32 v18, s5
	v_mul_f64 v[2:3], v[20:21], s[0:1]
	v_fma_f64 v[12:13], v[27:28], v[12:13], v[22:23]
	v_fma_f64 v[14:15], v[27:28], v[14:15], -v[24:25]
	buffer_load_dword v26, off, s[36:39], 0 ; 4-byte Folded Reload
	buffer_load_dword v27, off, s[36:39], 0 offset:4 ; 4-byte Folded Reload
	buffer_load_dword v28, off, s[36:39], 0 offset:8 ; 4-byte Folded Reload
	;; [unrolled: 1-line block ×3, first 2 shown]
	v_addc_co_u32_e32 v17, vcc, v17, v18, vcc
	s_waitcnt vmcnt(0)
	v_mul_f64 v[18:19], v[28:29], v[10:11]
	v_mul_f64 v[20:21], v[28:29], v[8:9]
	buffer_load_dword v28, off, s[36:39], 0 offset:184 ; 4-byte Folded Reload
	buffer_load_dword v29, off, s[36:39], 0 offset:188 ; 4-byte Folded Reload
	;; [unrolled: 1-line block ×4, first 2 shown]
	v_fma_f64 v[8:9], v[26:27], v[8:9], v[18:19]
	global_store_dwordx4 v[16:17], v[0:3], off
	v_fma_f64 v[10:11], v[26:27], v[10:11], -v[20:21]
	v_mul_f64 v[0:1], v[12:13], s[0:1]
	v_mul_f64 v[2:3], v[14:15], s[0:1]
	v_mov_b32_e32 v13, s2
	v_add_co_u32_e32 v12, vcc, s3, v16
	v_addc_co_u32_e32 v13, vcc, v17, v13, vcc
	global_store_dwordx4 v[12:13], v[0:3], off
	s_nop 0
	v_mul_f64 v[0:1], v[8:9], s[0:1]
	v_mul_f64 v[2:3], v[10:11], s[0:1]
	v_mov_b32_e32 v9, s5
	v_add_co_u32_e32 v8, vcc, s4, v12
	v_addc_co_u32_e32 v9, vcc, v13, v9, vcc
	global_store_dwordx4 v[8:9], v[0:3], off
	s_nop 0
	v_mov_b32_e32 v1, s2
	v_add_co_u32_e32 v0, vcc, s3, v8
	v_addc_co_u32_e32 v1, vcc, v9, v1, vcc
	s_waitcnt vmcnt(3) lgkmcnt(0)
	v_mul_f64 v[22:23], v[30:31], v[6:7]
	v_mul_f64 v[24:25], v[30:31], v[4:5]
	v_fma_f64 v[4:5], v[28:29], v[4:5], v[22:23]
	v_fma_f64 v[6:7], v[28:29], v[6:7], -v[24:25]
	v_mul_f64 v[4:5], v[4:5], s[0:1]
	v_mul_f64 v[6:7], v[6:7], s[0:1]
	global_store_dwordx4 v[0:1], v[4:7], off
.LBB0_10:
	s_endpgm
	.section	.rodata,"a",@progbits
	.p2align	6, 0x0
	.amdhsa_kernel bluestein_single_fwd_len1512_dim1_dp_op_CI_CI
		.amdhsa_group_segment_fixed_size 24192
		.amdhsa_private_segment_fixed_size 1620
		.amdhsa_kernarg_size 104
		.amdhsa_user_sgpr_count 6
		.amdhsa_user_sgpr_private_segment_buffer 1
		.amdhsa_user_sgpr_dispatch_ptr 0
		.amdhsa_user_sgpr_queue_ptr 0
		.amdhsa_user_sgpr_kernarg_segment_ptr 1
		.amdhsa_user_sgpr_dispatch_id 0
		.amdhsa_user_sgpr_flat_scratch_init 0
		.amdhsa_user_sgpr_private_segment_size 0
		.amdhsa_uses_dynamic_stack 0
		.amdhsa_system_sgpr_private_segment_wavefront_offset 1
		.amdhsa_system_sgpr_workgroup_id_x 1
		.amdhsa_system_sgpr_workgroup_id_y 0
		.amdhsa_system_sgpr_workgroup_id_z 0
		.amdhsa_system_sgpr_workgroup_info 0
		.amdhsa_system_vgpr_workitem_id 0
		.amdhsa_next_free_vgpr 256
		.amdhsa_next_free_sgpr 40
		.amdhsa_reserve_vcc 1
		.amdhsa_reserve_flat_scratch 0
		.amdhsa_float_round_mode_32 0
		.amdhsa_float_round_mode_16_64 0
		.amdhsa_float_denorm_mode_32 3
		.amdhsa_float_denorm_mode_16_64 3
		.amdhsa_dx10_clamp 1
		.amdhsa_ieee_mode 1
		.amdhsa_fp16_overflow 0
		.amdhsa_exception_fp_ieee_invalid_op 0
		.amdhsa_exception_fp_denorm_src 0
		.amdhsa_exception_fp_ieee_div_zero 0
		.amdhsa_exception_fp_ieee_overflow 0
		.amdhsa_exception_fp_ieee_underflow 0
		.amdhsa_exception_fp_ieee_inexact 0
		.amdhsa_exception_int_div_zero 0
	.end_amdhsa_kernel
	.text
.Lfunc_end0:
	.size	bluestein_single_fwd_len1512_dim1_dp_op_CI_CI, .Lfunc_end0-bluestein_single_fwd_len1512_dim1_dp_op_CI_CI
                                        ; -- End function
	.section	.AMDGPU.csdata,"",@progbits
; Kernel info:
; codeLenInByte = 41096
; NumSgprs: 44
; NumVgprs: 256
; ScratchSize: 1620
; MemoryBound: 0
; FloatMode: 240
; IeeeMode: 1
; LDSByteSize: 24192 bytes/workgroup (compile time only)
; SGPRBlocks: 5
; VGPRBlocks: 63
; NumSGPRsForWavesPerEU: 44
; NumVGPRsForWavesPerEU: 256
; Occupancy: 1
; WaveLimiterHint : 1
; COMPUTE_PGM_RSRC2:SCRATCH_EN: 1
; COMPUTE_PGM_RSRC2:USER_SGPR: 6
; COMPUTE_PGM_RSRC2:TRAP_HANDLER: 0
; COMPUTE_PGM_RSRC2:TGID_X_EN: 1
; COMPUTE_PGM_RSRC2:TGID_Y_EN: 0
; COMPUTE_PGM_RSRC2:TGID_Z_EN: 0
; COMPUTE_PGM_RSRC2:TIDIG_COMP_CNT: 0
	.type	__hip_cuid_e54b9221c2d48963,@object ; @__hip_cuid_e54b9221c2d48963
	.section	.bss,"aw",@nobits
	.globl	__hip_cuid_e54b9221c2d48963
__hip_cuid_e54b9221c2d48963:
	.byte	0                               ; 0x0
	.size	__hip_cuid_e54b9221c2d48963, 1

	.ident	"AMD clang version 19.0.0git (https://github.com/RadeonOpenCompute/llvm-project roc-6.4.0 25133 c7fe45cf4b819c5991fe208aaa96edf142730f1d)"
	.section	".note.GNU-stack","",@progbits
	.addrsig
	.addrsig_sym __hip_cuid_e54b9221c2d48963
	.amdgpu_metadata
---
amdhsa.kernels:
  - .args:
      - .actual_access:  read_only
        .address_space:  global
        .offset:         0
        .size:           8
        .value_kind:     global_buffer
      - .actual_access:  read_only
        .address_space:  global
        .offset:         8
        .size:           8
        .value_kind:     global_buffer
      - .actual_access:  read_only
        .address_space:  global
        .offset:         16
        .size:           8
        .value_kind:     global_buffer
      - .actual_access:  read_only
        .address_space:  global
        .offset:         24
        .size:           8
        .value_kind:     global_buffer
      - .actual_access:  read_only
        .address_space:  global
        .offset:         32
        .size:           8
        .value_kind:     global_buffer
      - .offset:         40
        .size:           8
        .value_kind:     by_value
      - .address_space:  global
        .offset:         48
        .size:           8
        .value_kind:     global_buffer
      - .address_space:  global
        .offset:         56
        .size:           8
        .value_kind:     global_buffer
      - .address_space:  global
        .offset:         64
        .size:           8
        .value_kind:     global_buffer
      - .address_space:  global
        .offset:         72
        .size:           8
        .value_kind:     global_buffer
      - .offset:         80
        .size:           4
        .value_kind:     by_value
      - .address_space:  global
        .offset:         88
        .size:           8
        .value_kind:     global_buffer
      - .address_space:  global
        .offset:         96
        .size:           8
        .value_kind:     global_buffer
    .group_segment_fixed_size: 24192
    .kernarg_segment_align: 8
    .kernarg_segment_size: 104
    .language:       OpenCL C
    .language_version:
      - 2
      - 0
    .max_flat_workgroup_size: 63
    .name:           bluestein_single_fwd_len1512_dim1_dp_op_CI_CI
    .private_segment_fixed_size: 1620
    .sgpr_count:     44
    .sgpr_spill_count: 0
    .symbol:         bluestein_single_fwd_len1512_dim1_dp_op_CI_CI.kd
    .uniform_work_group_size: 1
    .uses_dynamic_stack: false
    .vgpr_count:     256
    .vgpr_spill_count: 404
    .wavefront_size: 64
amdhsa.target:   amdgcn-amd-amdhsa--gfx906
amdhsa.version:
  - 1
  - 2
...

	.end_amdgpu_metadata
